;; amdgpu-corpus repo=ROCm/rocFFT kind=compiled arch=gfx906 opt=O3
	.text
	.amdgcn_target "amdgcn-amd-amdhsa--gfx906"
	.amdhsa_code_object_version 6
	.protected	bluestein_single_fwd_len1296_dim1_sp_op_CI_CI ; -- Begin function bluestein_single_fwd_len1296_dim1_sp_op_CI_CI
	.globl	bluestein_single_fwd_len1296_dim1_sp_op_CI_CI
	.p2align	8
	.type	bluestein_single_fwd_len1296_dim1_sp_op_CI_CI,@function
bluestein_single_fwd_len1296_dim1_sp_op_CI_CI: ; @bluestein_single_fwd_len1296_dim1_sp_op_CI_CI
; %bb.0:
	s_load_dwordx4 s[16:19], s[4:5], 0x28
	v_mul_u32_u24_e32 v1, 0x25f, v0
	v_add_u32_sdwa v64, s6, v1 dst_sel:DWORD dst_unused:UNUSED_PAD src0_sel:DWORD src1_sel:WORD_1
	v_mov_b32_e32 v65, 0
	s_waitcnt lgkmcnt(0)
	v_cmp_gt_u64_e32 vcc, s[16:17], v[64:65]
	s_and_saveexec_b64 s[0:1], vcc
	s_cbranch_execz .LBB0_2
; %bb.1:
	s_load_dwordx4 s[0:3], s[4:5], 0x18
	s_load_dwordx4 s[8:11], s[4:5], 0x0
	s_movk_i32 s7, 0x6c
	v_mul_lo_u16_sdwa v1, v1, s7 dst_sel:DWORD dst_unused:UNUSED_PAD src0_sel:WORD_1 src1_sel:DWORD
	v_sub_u16_e32 v88, v0, v1
	s_waitcnt lgkmcnt(0)
	s_load_dwordx4 s[12:15], s[0:1], 0x0
	v_lshlrev_b32_e32 v89, 3, v88
	s_movk_i32 s6, 0x1000
	global_load_dwordx2 v[71:72], v89, s[8:9]
	global_load_dwordx2 v[69:70], v89, s[8:9] offset:1728
	global_load_dwordx2 v[67:68], v89, s[8:9] offset:3456
	s_waitcnt lgkmcnt(0)
	v_mad_u64_u32 v[0:1], s[0:1], s14, v64, 0
	v_mad_u64_u32 v[2:3], s[0:1], s12, v88, 0
	v_mov_b32_e32 v87, 0xffffe1a0
	v_add_u32_e32 v93, 0xc00, v89
	v_mad_u64_u32 v[4:5], s[0:1], s15, v64, v[1:2]
	s_mul_i32 s15, s12, 0x6c0
	v_add_u32_e32 v94, 0x400, v89
	v_mad_u64_u32 v[5:6], s[0:1], s13, v88, v[3:4]
	v_mov_b32_e32 v1, v4
	v_lshlrev_b64 v[0:1], 3, v[0:1]
	v_mov_b32_e32 v6, s19
	v_mov_b32_e32 v3, v5
	v_add_co_u32_e32 v4, vcc, s18, v0
	v_addc_co_u32_e32 v5, vcc, v6, v1, vcc
	v_lshlrev_b64 v[0:1], 3, v[2:3]
	s_mul_i32 s0, s13, 0x6c0
	v_add_co_u32_e32 v0, vcc, v4, v0
	v_addc_co_u32_e32 v1, vcc, v5, v1, vcc
	v_mov_b32_e32 v4, s9
	v_add_co_u32_e32 v95, vcc, s8, v89
	s_mul_hi_u32 s1, s12, 0x6c0
	v_addc_co_u32_e32 v96, vcc, 0, v4, vcc
	s_add_i32 s14, s1, s0
	global_load_dwordx2 v[2:3], v[0:1], off
	v_mov_b32_e32 v4, s14
	v_add_co_u32_e32 v0, vcc, s15, v0
	v_addc_co_u32_e32 v1, vcc, v1, v4, vcc
	v_mov_b32_e32 v5, s14
	v_add_co_u32_e32 v4, vcc, s15, v0
	v_addc_co_u32_e32 v5, vcc, v1, v5, vcc
	;; [unrolled: 3-line block ×3, first 2 shown]
	global_load_dwordx2 v[8:9], v[0:1], off
	global_load_dwordx2 v[10:11], v[4:5], off
	global_load_dwordx2 v[12:13], v[6:7], off
	v_add_co_u32_e32 v0, vcc, s6, v95
	v_addc_co_u32_e32 v1, vcc, 0, v96, vcc
	v_mov_b32_e32 v5, s14
	v_add_co_u32_e32 v4, vcc, s15, v6
	v_addc_co_u32_e32 v5, vcc, v7, v5, vcc
	global_load_dwordx2 v[65:66], v[0:1], off offset:1088
	global_load_dwordx2 v[6:7], v[4:5], off
	global_load_dwordx2 v[58:59], v[0:1], off offset:2816
	v_mov_b32_e32 v14, s14
	v_add_co_u32_e32 v4, vcc, s15, v4
	v_addc_co_u32_e32 v5, vcc, v5, v14, vcc
	s_movk_i32 s0, 0x2000
	global_load_dwordx2 v[14:15], v[4:5], off
	v_add_co_u32_e32 v81, vcc, s0, v95
	v_mad_u64_u32 v[4:5], s[0:1], s12, v87, v[4:5]
	v_addc_co_u32_e32 v82, vcc, 0, v96, vcc
	s_mul_i32 s0, s13, 0xffffe1a0
	global_load_dwordx2 v[62:63], v[81:82], off offset:448
	s_sub_i32 s0, s0, s12
	v_add_u32_e32 v5, s0, v5
	global_load_dwordx2 v[16:17], v[4:5], off
	global_load_dwordx2 v[54:55], v89, s[8:9] offset:2592
	global_load_dwordx2 v[60:61], v89, s[8:9] offset:864
	v_mov_b32_e32 v18, s14
	v_add_co_u32_e32 v4, vcc, s15, v4
	v_addc_co_u32_e32 v5, vcc, v5, v18, vcc
	global_load_dwordx2 v[18:19], v[4:5], off
	v_mov_b32_e32 v20, s14
	v_add_co_u32_e32 v4, vcc, s15, v4
	v_addc_co_u32_e32 v5, vcc, v5, v20, vcc
	global_load_dwordx2 v[20:21], v[4:5], off
	global_load_dwordx2 v[52:53], v[0:1], off offset:1952
	global_load_dwordx2 v[56:57], v[0:1], off offset:224
	v_mov_b32_e32 v22, s14
	v_add_co_u32_e32 v4, vcc, s15, v4
	v_addc_co_u32_e32 v5, vcc, v5, v22, vcc
	global_load_dwordx2 v[22:23], v[4:5], off
	v_mov_b32_e32 v24, s14
	v_add_co_u32_e32 v4, vcc, s15, v4
	v_addc_co_u32_e32 v5, vcc, v5, v24, vcc
	global_load_dwordx2 v[24:25], v[4:5], off
	global_load_dwordx2 v[50:51], v[0:1], off offset:3680
	v_mov_b32_e32 v1, s14
	v_add_co_u32_e32 v0, vcc, s15, v4
	v_addc_co_u32_e32 v1, vcc, v5, v1, vcc
	global_load_dwordx2 v[4:5], v[0:1], off
	global_load_dwordx2 v[48:49], v[81:82], off offset:1312
	s_load_dwordx4 s[0:3], s[2:3], 0x0
	v_add_u32_e32 v91, 0x1800, v89
	v_add_u32_e32 v92, 0x1000, v89
	;; [unrolled: 1-line block ×3, first 2 shown]
	s_waitcnt vmcnt(20)
	v_mul_f32_e32 v0, v3, v72
	v_mul_f32_e32 v1, v2, v72
	v_fmac_f32_e32 v0, v2, v71
	v_fma_f32 v1, v3, v71, -v1
	s_load_dwordx2 s[4:5], s[4:5], 0x38
	s_waitcnt vmcnt(19)
	v_mul_f32_e32 v2, v9, v70
	v_mul_f32_e32 v3, v8, v70
	v_fmac_f32_e32 v2, v8, v69
	v_fma_f32 v3, v9, v69, -v3
	ds_write_b64 v89, v[2:3] offset:1728
	s_waitcnt vmcnt(18)
	v_mul_f32_e32 v2, v11, v68
	v_mul_f32_e32 v3, v10, v68
	v_fmac_f32_e32 v2, v10, v67
	v_fma_f32 v3, v11, v67, -v3
	ds_write_b64 v89, v[2:3] offset:3456
	;; [unrolled: 6-line block ×5, first 2 shown]
	s_waitcnt vmcnt(9)
	v_mul_f32_e32 v2, v17, v61
	v_mul_f32_e32 v3, v16, v61
	v_fmac_f32_e32 v2, v16, v60
	v_fma_f32 v3, v17, v60, -v3
	ds_write2_b64 v89, v[0:1], v[2:3] offset1:108
	s_waitcnt vmcnt(8)
	v_mul_f32_e32 v0, v19, v55
	v_mul_f32_e32 v1, v18, v55
	v_fmac_f32_e32 v0, v18, v54
	v_fma_f32 v1, v19, v54, -v1
	ds_write_b64 v89, v[0:1] offset:2592
	s_waitcnt vmcnt(5)
	v_mul_f32_e32 v0, v21, v57
	v_mul_f32_e32 v1, v20, v57
	v_fmac_f32_e32 v0, v20, v56
	v_fma_f32 v1, v21, v56, -v1
	ds_write_b64 v89, v[0:1] offset:4320
	;; [unrolled: 6-line block ×5, first 2 shown]
	s_waitcnt lgkmcnt(0)
	s_barrier
	ds_read2_b64 v[0:3], v89 offset1:108
	ds_read2_b64 v[8:11], v93 offset0:48 offset1:156
	ds_read2_b64 v[4:7], v94 offset0:88 offset1:196
	;; [unrolled: 1-line block ×5, first 2 shown]
	s_waitcnt lgkmcnt(0)
	v_add_f32_e32 v24, v0, v8
	v_add_f32_e32 v25, v24, v12
	;; [unrolled: 1-line block ×3, first 2 shown]
	v_fma_f32 v0, -0.5, v24, v0
	v_sub_f32_e32 v24, v9, v13
	v_mov_b32_e32 v27, v0
	v_fmac_f32_e32 v27, 0x3f5db3d7, v24
	v_fmac_f32_e32 v0, 0xbf5db3d7, v24
	v_add_f32_e32 v24, v4, v16
	v_add_f32_e32 v29, v24, v20
	;; [unrolled: 1-line block ×3, first 2 shown]
	v_fma_f32 v4, -0.5, v24, v4
	v_sub_f32_e32 v24, v17, v21
	v_mov_b32_e32 v33, v4
	v_fmac_f32_e32 v33, 0x3f5db3d7, v24
	v_fmac_f32_e32 v4, 0xbf5db3d7, v24
	v_add_f32_e32 v24, v17, v21
	v_fma_f32 v35, -0.5, v24, v5
	v_sub_f32_e32 v16, v16, v20
	v_mov_b32_e32 v20, v35
	v_fmac_f32_e32 v35, 0x3f5db3d7, v16
	v_mul_f32_e32 v31, -0.5, v4
	v_fmac_f32_e32 v31, 0x3f5db3d7, v35
	v_add_f32_e32 v28, v0, v31
	v_sub_f32_e32 v34, v0, v31
	v_add_f32_e32 v0, v1, v9
	v_add_f32_e32 v5, v5, v17
	;; [unrolled: 1-line block ×5, first 2 shown]
	v_sub_f32_e32 v30, v25, v29
	v_add_f32_e32 v25, v0, v5
	v_sub_f32_e32 v31, v0, v5
	v_add_f32_e32 v0, v9, v13
	v_fma_f32 v0, -0.5, v0, v1
	v_fmac_f32_e32 v20, 0xbf5db3d7, v16
	v_sub_f32_e32 v1, v8, v12
	v_mov_b32_e32 v5, v0
	v_mul_f32_e32 v16, 0x3f5db3d7, v20
	v_fmac_f32_e32 v5, 0xbf5db3d7, v1
	v_fmac_f32_e32 v0, 0x3f5db3d7, v1
	v_mul_f32_e32 v1, 0xbf5db3d7, v33
	v_fmac_f32_e32 v16, 0.5, v33
	v_fmac_f32_e32 v1, 0.5, v20
	v_add_f32_e32 v26, v27, v16
	v_sub_f32_e32 v32, v27, v16
	v_add_f32_e32 v27, v5, v1
	v_mul_f32_e32 v8, -0.5, v35
	v_sub_f32_e32 v33, v5, v1
	v_add_f32_e32 v1, v10, v14
	v_fmac_f32_e32 v8, 0xbf5db3d7, v4
	v_fma_f32 v1, -0.5, v1, v2
	v_add_f32_e32 v29, v0, v8
	v_sub_f32_e32 v35, v0, v8
	v_add_f32_e32 v0, v2, v10
	v_sub_f32_e32 v2, v11, v15
	v_mov_b32_e32 v12, v1
	v_fmac_f32_e32 v12, 0x3f5db3d7, v2
	v_fmac_f32_e32 v1, 0xbf5db3d7, v2
	v_add_f32_e32 v2, v3, v11
	v_add_f32_e32 v13, v2, v15
	;; [unrolled: 1-line block ×3, first 2 shown]
	v_fmac_f32_e32 v3, -0.5, v2
	v_add_f32_e32 v4, v18, v22
	v_add_f32_e32 v0, v0, v14
	v_sub_f32_e32 v2, v10, v14
	v_mov_b32_e32 v14, v3
	v_fma_f32 v5, -0.5, v4, v6
	v_fmac_f32_e32 v14, 0xbf5db3d7, v2
	v_fmac_f32_e32 v3, 0x3f5db3d7, v2
	v_add_f32_e32 v2, v6, v18
	v_sub_f32_e32 v4, v19, v23
	v_mov_b32_e32 v6, v5
	v_fmac_f32_e32 v6, 0x3f5db3d7, v4
	v_fmac_f32_e32 v5, 0xbf5db3d7, v4
	v_add_f32_e32 v4, v7, v19
	v_add_f32_e32 v15, v4, v23
	;; [unrolled: 1-line block ×3, first 2 shown]
	v_fmac_f32_e32 v7, -0.5, v4
	v_sub_f32_e32 v4, v18, v22
	v_mov_b32_e32 v11, v7
	v_fmac_f32_e32 v11, 0xbf5db3d7, v4
	v_mul_f32_e32 v17, 0x3f5db3d7, v11
	v_add_f32_e32 v2, v2, v22
	v_fmac_f32_e32 v17, 0.5, v6
	v_add_co_u32_e32 v16, vcc, s7, v88
	v_fmac_f32_e32 v7, 0x3f5db3d7, v4
	v_add_f32_e32 v8, v0, v2
	v_add_f32_e32 v10, v12, v17
	v_mul_f32_e32 v19, 0xbf5db3d7, v6
	v_sub_f32_e32 v6, v0, v2
	v_sub_f32_e32 v0, v12, v17
	v_mul_lo_u16_e32 v12, 6, v88
	v_mul_f32_e32 v18, -0.5, v5
	v_fmac_f32_e32 v19, 0.5, v11
	v_mul_f32_e32 v20, -0.5, v7
	v_lshlrev_b32_e32 v100, 3, v12
	v_mul_u32_u24_e32 v12, 6, v16
	v_fmac_f32_e32 v18, 0x3f5db3d7, v7
	v_add_f32_e32 v9, v13, v15
	v_add_f32_e32 v11, v14, v19
	v_fmac_f32_e32 v20, 0xbf5db3d7, v5
	v_lshlrev_b32_e32 v97, 3, v12
	s_movk_i32 s7, 0xab
	v_add_f32_e32 v4, v1, v18
	v_add_f32_e32 v5, v3, v20
	v_sub_f32_e32 v2, v1, v18
	v_sub_f32_e32 v7, v13, v15
	;; [unrolled: 1-line block ×4, first 2 shown]
	s_barrier
	ds_write_b128 v100, v[24:27]
	ds_write_b128 v100, v[28:31] offset:16
	ds_write_b128 v100, v[32:35] offset:32
	ds_write_b128 v97, v[8:11]
	ds_write_b128 v97, v[4:7] offset:16
	ds_write_b128 v97, v[0:3] offset:32
	v_mul_lo_u16_sdwa v0, v88, s7 dst_sel:DWORD dst_unused:UNUSED_PAD src0_sel:BYTE_0 src1_sel:DWORD
	v_lshrrev_b16_e32 v25, 10, v0
	v_mul_lo_u16_e32 v0, 6, v25
	v_sub_u16_e32 v0, v88, v0
	v_and_b32_e32 v26, 0xff, v0
	v_mad_u64_u32 v[17:18], s[8:9], v26, 40, s[10:11]
	v_mul_lo_u16_sdwa v0, v16, s7 dst_sel:DWORD dst_unused:UNUSED_PAD src0_sel:BYTE_0 src1_sel:DWORD
	v_lshrrev_b16_e32 v33, 10, v0
	v_mul_lo_u16_e32 v0, 6, v33
	s_waitcnt lgkmcnt(0)
	s_barrier
	global_load_dwordx4 v[12:15], v[17:18], off
	v_sub_u16_e32 v0, v16, v0
	v_and_b32_e32 v34, 0xff, v0
	v_mad_u64_u32 v[19:20], s[8:9], v34, 40, s[10:11]
	global_load_dwordx4 v[8:11], v[19:20], off
	global_load_dwordx4 v[4:7], v[17:18], off offset:16
	global_load_dwordx4 v[0:3], v[19:20], off offset:16
	global_load_dwordx2 v[75:76], v[17:18], off offset:32
	global_load_dwordx2 v[73:74], v[19:20], off offset:32
	ds_read2_b64 v[17:20], v94 offset0:88 offset1:196
	ds_read2_b64 v[21:24], v93 offset0:48 offset1:156
	s_waitcnt vmcnt(5) lgkmcnt(1)
	v_mul_f32_e32 v27, v18, v13
	v_fma_f32 v27, v17, v12, -v27
	v_mul_f32_e32 v28, v17, v13
	s_waitcnt lgkmcnt(0)
	v_mul_f32_e32 v17, v22, v15
	v_fma_f32 v29, v21, v14, -v17
	s_waitcnt vmcnt(4)
	v_mul_f32_e32 v17, v20, v9
	v_mul_f32_e32 v32, v19, v9
	v_fmac_f32_e32 v28, v18, v12
	v_fma_f32 v31, v19, v8, -v17
	v_fmac_f32_e32 v32, v20, v8
	ds_read2_b64 v[17:20], v92 offset0:136 offset1:244
	v_mul_f32_e32 v30, v21, v15
	v_mul_f32_e32 v21, v24, v11
	v_fma_f32 v35, v23, v10, -v21
	v_mul_f32_e32 v36, v23, v11
	s_waitcnt vmcnt(3) lgkmcnt(0)
	v_mul_f32_e32 v21, v18, v5
	v_fmac_f32_e32 v30, v22, v14
	v_fmac_f32_e32 v36, v24, v10
	v_fma_f32 v37, v17, v4, -v21
	ds_read2_b64 v[21:24], v91 offset0:96 offset1:204
	v_mul_f32_e32 v38, v17, v5
	s_waitcnt vmcnt(2)
	v_mul_f32_e32 v17, v20, v1
	v_fma_f32 v39, v19, v0, -v17
	v_mul_f32_e32 v40, v19, v1
	s_waitcnt lgkmcnt(0)
	v_mul_f32_e32 v17, v22, v7
	v_fmac_f32_e32 v38, v18, v4
	v_fmac_f32_e32 v40, v20, v0
	v_fma_f32 v41, v21, v6, -v17
	ds_read2_b64 v[17:20], v90 offset0:56 offset1:164
	v_mul_f32_e32 v42, v21, v7
	v_mul_f32_e32 v21, v24, v3
	v_fma_f32 v43, v23, v2, -v21
	v_mul_f32_e32 v44, v23, v3
	s_waitcnt vmcnt(1) lgkmcnt(0)
	v_mul_f32_e32 v21, v18, v76
	v_fmac_f32_e32 v42, v22, v6
	v_fmac_f32_e32 v44, v24, v2
	v_fma_f32 v45, v17, v75, -v21
	ds_read2_b64 v[21:24], v89 offset1:108
	v_mul_f32_e32 v17, v17, v76
	v_fmac_f32_e32 v17, v18, v75
	s_waitcnt vmcnt(0)
	v_mul_f32_e32 v18, v20, v74
	v_fma_f32 v46, v19, v73, -v18
	v_mul_f32_e32 v47, v19, v74
	s_waitcnt lgkmcnt(0)
	v_add_f32_e32 v18, v22, v30
	v_add_f32_e32 v19, v21, v29
	;; [unrolled: 1-line block ×3, first 2 shown]
	v_sub_f32_e32 v78, v30, v42
	v_add_f32_e32 v18, v30, v42
	v_add_f32_e32 v30, v19, v41
	v_add_f32_e32 v19, v29, v41
	v_sub_f32_e32 v29, v29, v41
	v_add_f32_e32 v41, v37, v45
	v_fmac_f32_e32 v47, v20, v73
	v_add_f32_e32 v20, v27, v37
	v_fmac_f32_e32 v27, -0.5, v41
	v_add_f32_e32 v41, v28, v38
	v_add_f32_e32 v41, v41, v17
	v_sub_f32_e32 v42, v38, v17
	v_add_f32_e32 v17, v38, v17
	v_fmac_f32_e32 v28, -0.5, v17
	v_add_f32_e32 v38, v20, v45
	v_sub_f32_e32 v37, v37, v45
	v_mov_b32_e32 v20, v28
	v_mov_b32_e32 v17, v27
	v_fmac_f32_e32 v20, 0xbf5db3d7, v37
	v_fmac_f32_e32 v17, 0x3f5db3d7, v42
	v_mul_f32_e32 v45, 0x3f5db3d7, v20
	v_fmac_f32_e32 v45, 0.5, v17
	v_mul_f32_e32 v79, 0xbf5db3d7, v17
	v_mul_u32_u24_e32 v17, 36, v25
	v_add_lshl_u32 v98, v17, v26, 3
	v_fma_f32 v26, -0.5, v18, v22
	v_fma_f32 v25, -0.5, v19, v21
	v_mov_b32_e32 v22, v26
	v_fmac_f32_e32 v27, 0xbf5db3d7, v42
	v_mov_b32_e32 v21, v25
	v_fmac_f32_e32 v22, 0xbf5db3d7, v29
	v_fmac_f32_e32 v26, 0x3f5db3d7, v29
	;; [unrolled: 1-line block ×3, first 2 shown]
	v_mul_f32_e32 v29, -0.5, v27
	v_fmac_f32_e32 v79, 0.5, v20
	v_fmac_f32_e32 v21, 0x3f5db3d7, v78
	v_fmac_f32_e32 v29, 0x3f5db3d7, v28
	v_mul_f32_e32 v28, -0.5, v28
	v_add_f32_e32 v17, v30, v38
	v_add_f32_e32 v18, v77, v41
	;; [unrolled: 1-line block ×4, first 2 shown]
	v_fmac_f32_e32 v25, 0xbf5db3d7, v78
	v_fmac_f32_e32 v28, 0xbf5db3d7, v27
	s_barrier
	ds_write2_b64 v98, v[17:18], v[19:20] offset1:6
	v_sub_f32_e32 v17, v30, v38
	v_sub_f32_e32 v18, v77, v41
	v_add_f32_e32 v19, v25, v29
	v_add_f32_e32 v20, v26, v28
	ds_write2_b64 v98, v[19:20], v[17:18] offset0:12 offset1:18
	v_add_f32_e32 v17, v36, v44
	v_add_f32_e32 v27, v24, v36
	v_fmac_f32_e32 v24, -0.5, v17
	v_add_f32_e32 v17, v39, v46
	v_add_f32_e32 v30, v31, v39
	v_fmac_f32_e32 v31, -0.5, v17
	;; [unrolled: 3-line block ×3, first 2 shown]
	v_sub_f32_e32 v39, v39, v46
	v_add_f32_e32 v17, v35, v43
	v_sub_f32_e32 v40, v40, v47
	v_mov_b32_e32 v77, v32
	v_fmac_f32_e32 v32, 0x3f5db3d7, v39
	v_fma_f32 v19, -0.5, v17, v23
	v_add_f32_e32 v38, v23, v35
	v_sub_f32_e32 v35, v35, v43
	v_mov_b32_e32 v42, v31
	v_fmac_f32_e32 v31, 0xbf5db3d7, v40
	v_mul_f32_e32 v17, -0.5, v32
	v_mov_b32_e32 v41, v24
	v_fmac_f32_e32 v24, 0x3f5db3d7, v35
	v_fmac_f32_e32 v17, 0xbf5db3d7, v31
	v_sub_f32_e32 v23, v25, v29
	v_mul_f32_e32 v25, -0.5, v31
	v_sub_f32_e32 v29, v36, v44
	v_add_f32_e32 v18, v24, v17
	v_sub_f32_e32 v20, v24, v17
	v_sub_f32_e32 v24, v26, v28
	v_fmac_f32_e32 v25, 0x3f5db3d7, v32
	v_mov_b32_e32 v31, v19
	v_fmac_f32_e32 v19, 0xbf5db3d7, v29
	v_add_f32_e32 v28, v38, v43
	v_add_f32_e32 v32, v27, v44
	;; [unrolled: 1-line block ×4, first 2 shown]
	v_fmac_f32_e32 v42, 0x3f5db3d7, v40
	v_fmac_f32_e32 v77, 0xbf5db3d7, v39
	v_sub_f32_e32 v21, v21, v45
	v_sub_f32_e32 v22, v22, v79
	v_add_f32_e32 v17, v19, v25
	v_sub_f32_e32 v19, v19, v25
	v_add_f32_e32 v25, v28, v27
	v_add_f32_e32 v26, v32, v30
	v_sub_f32_e32 v27, v28, v27
	v_sub_f32_e32 v28, v32, v30
	v_fmac_f32_e32 v41, 0xbf5db3d7, v35
	v_mul_f32_e32 v32, 0x3f5db3d7, v77
	v_mul_f32_e32 v35, 0xbf5db3d7, v42
	v_fmac_f32_e32 v31, 0x3f5db3d7, v29
	v_fmac_f32_e32 v32, 0.5, v42
	v_fmac_f32_e32 v35, 0.5, v77
	ds_write2_b64 v98, v[21:22], v[23:24] offset0:24 offset1:30
	v_mul_u32_u24_e32 v21, 36, v33
	v_add_f32_e32 v29, v31, v32
	v_add_f32_e32 v30, v41, v35
	v_add_lshl_u32 v101, v21, v34, 3
	v_sub_f32_e32 v31, v31, v32
	v_sub_f32_e32 v32, v41, v35
	ds_write2_b64 v101, v[25:26], v[29:30] offset1:6
	ds_write2_b64 v101, v[17:18], v[27:28] offset0:12 offset1:18
	ds_write2_b64 v101, v[31:32], v[19:20] offset0:24 offset1:30
	v_mov_b32_e32 v17, 57
	v_mul_lo_u16_sdwa v18, v88, v17 dst_sel:DWORD dst_unused:UNUSED_PAD src0_sel:BYTE_0 src1_sel:DWORD
	v_lshrrev_b16_e32 v40, 11, v18
	v_mul_lo_u16_e32 v18, 36, v40
	v_sub_u16_e32 v18, v88, v18
	v_and_b32_e32 v41, 0xff, v18
	v_mad_u64_u32 v[32:33], s[8:9], v41, 40, s[10:11]
	s_waitcnt lgkmcnt(0)
	s_barrier
	v_mul_lo_u16_sdwa v17, v16, v17 dst_sel:DWORD dst_unused:UNUSED_PAD src0_sel:BYTE_0 src1_sel:DWORD
	global_load_dwordx4 v[28:31], v[32:33], off offset:240
	v_lshrrev_b16_e32 v42, 11, v17
	v_mul_lo_u16_e32 v17, 36, v42
	v_sub_u16_e32 v16, v16, v17
	v_and_b32_e32 v43, 0xff, v16
	v_mad_u64_u32 v[34:35], s[8:9], v43, 40, s[10:11]
	global_load_dwordx4 v[20:23], v[34:35], off offset:240
	global_load_dwordx4 v[24:27], v[32:33], off offset:256
	;; [unrolled: 1-line block ×3, first 2 shown]
	global_load_dwordx2 v[79:80], v[32:33], off offset:272
	global_load_dwordx2 v[77:78], v[34:35], off offset:272
	ds_read2_b64 v[32:35], v94 offset0:88 offset1:196
	s_waitcnt vmcnt(5) lgkmcnt(0)
	v_mul_f32_e32 v36, v33, v29
	v_fma_f32 v44, v32, v28, -v36
	ds_read2_b64 v[36:39], v93 offset0:48 offset1:156
	v_mul_f32_e32 v45, v32, v29
	v_fmac_f32_e32 v45, v33, v28
	s_waitcnt vmcnt(4)
	v_mul_f32_e32 v32, v35, v21
	v_fma_f32 v46, v34, v20, -v32
	v_mul_f32_e32 v47, v34, v21
	s_waitcnt lgkmcnt(0)
	v_mul_f32_e32 v32, v37, v31
	v_fmac_f32_e32 v47, v35, v20
	v_fma_f32 v83, v36, v30, -v32
	ds_read2_b64 v[32:35], v92 offset0:136 offset1:244
	v_mul_f32_e32 v84, v36, v31
	v_mul_f32_e32 v36, v39, v23
	v_fma_f32 v85, v38, v22, -v36
	v_mul_f32_e32 v86, v38, v23
	s_waitcnt vmcnt(3) lgkmcnt(0)
	v_mul_f32_e32 v36, v33, v25
	v_fmac_f32_e32 v84, v37, v30
	v_fmac_f32_e32 v86, v39, v22
	v_fma_f32 v99, v32, v24, -v36
	ds_read2_b64 v[36:39], v91 offset0:96 offset1:204
	v_mul_f32_e32 v102, v32, v25
	s_waitcnt vmcnt(2)
	v_mul_f32_e32 v32, v35, v17
	v_fma_f32 v103, v34, v16, -v32
	v_mul_f32_e32 v104, v34, v17
	s_waitcnt lgkmcnt(0)
	v_mul_f32_e32 v32, v37, v27
	v_fmac_f32_e32 v102, v33, v24
	v_fmac_f32_e32 v104, v35, v16
	v_fma_f32 v105, v36, v26, -v32
	ds_read2_b64 v[32:35], v90 offset0:56 offset1:164
	v_mul_f32_e32 v106, v36, v27
	v_mul_f32_e32 v36, v39, v19
	v_fma_f32 v107, v38, v18, -v36
	v_mul_f32_e32 v108, v38, v19
	s_waitcnt vmcnt(1) lgkmcnt(0)
	v_mul_f32_e32 v36, v33, v80
	v_fmac_f32_e32 v106, v37, v26
	v_fmac_f32_e32 v108, v39, v18
	v_fma_f32 v109, v32, v79, -v36
	ds_read2_b64 v[36:39], v89 offset1:108
	v_mul_f32_e32 v32, v32, v80
	v_fmac_f32_e32 v32, v33, v79
	s_waitcnt vmcnt(0)
	v_mul_f32_e32 v33, v35, v78
	v_fma_f32 v110, v34, v77, -v33
	v_mul_f32_e32 v111, v34, v78
	s_waitcnt lgkmcnt(0)
	v_add_f32_e32 v33, v37, v84
	v_add_f32_e32 v34, v36, v83
	;; [unrolled: 1-line block ×3, first 2 shown]
	v_sub_f32_e32 v113, v84, v106
	v_add_f32_e32 v33, v84, v106
	v_add_f32_e32 v84, v34, v105
	;; [unrolled: 1-line block ×3, first 2 shown]
	v_sub_f32_e32 v83, v83, v105
	v_add_f32_e32 v105, v99, v109
	v_fmac_f32_e32 v111, v35, v77
	v_add_f32_e32 v35, v44, v99
	v_fmac_f32_e32 v44, -0.5, v105
	v_add_f32_e32 v105, v45, v102
	v_add_f32_e32 v105, v105, v32
	v_sub_f32_e32 v106, v102, v32
	v_add_f32_e32 v32, v102, v32
	v_fmac_f32_e32 v45, -0.5, v32
	v_add_f32_e32 v102, v35, v109
	v_sub_f32_e32 v109, v99, v109
	v_mov_b32_e32 v35, v45
	v_mov_b32_e32 v32, v44
	v_fmac_f32_e32 v35, 0xbf5db3d7, v109
	v_fmac_f32_e32 v32, 0x3f5db3d7, v106
	v_mul_f32_e32 v114, 0x3f5db3d7, v35
	v_fmac_f32_e32 v114, 0.5, v32
	v_mul_f32_e32 v115, 0xbf5db3d7, v32
	v_mul_u32_u24_e32 v32, 0xd8, v40
	v_fma_f32 v37, -0.5, v33, v37
	v_add_lshl_u32 v99, v32, v41, 3
	v_fma_f32 v36, -0.5, v34, v36
	v_mov_b32_e32 v41, v37
	v_fmac_f32_e32 v44, 0xbf5db3d7, v106
	v_mov_b32_e32 v40, v36
	v_fmac_f32_e32 v41, 0xbf5db3d7, v83
	v_fmac_f32_e32 v37, 0x3f5db3d7, v83
	;; [unrolled: 1-line block ×3, first 2 shown]
	v_mul_f32_e32 v83, -0.5, v44
	v_fmac_f32_e32 v115, 0.5, v35
	v_fmac_f32_e32 v40, 0x3f5db3d7, v113
	v_fmac_f32_e32 v83, 0x3f5db3d7, v45
	v_mul_f32_e32 v45, -0.5, v45
	v_add_f32_e32 v32, v84, v102
	v_add_f32_e32 v33, v112, v105
	;; [unrolled: 1-line block ×4, first 2 shown]
	v_fmac_f32_e32 v36, 0xbf5db3d7, v113
	v_fmac_f32_e32 v45, 0xbf5db3d7, v44
	s_barrier
	ds_write2_b64 v99, v[32:33], v[34:35] offset1:36
	v_sub_f32_e32 v32, v84, v102
	v_sub_f32_e32 v33, v112, v105
	v_add_f32_e32 v34, v36, v83
	v_add_f32_e32 v35, v37, v45
	ds_write2_b64 v99, v[34:35], v[32:33] offset0:72 offset1:108
	v_sub_f32_e32 v32, v40, v114
	v_sub_f32_e32 v33, v41, v115
	;; [unrolled: 1-line block ×4, first 2 shown]
	ds_write2_b64 v99, v[32:33], v[34:35] offset0:144 offset1:180
	v_add_f32_e32 v34, v103, v110
	v_add_f32_e32 v33, v46, v103
	v_fmac_f32_e32 v46, -0.5, v34
	v_add_f32_e32 v34, v47, v104
	v_add_f32_e32 v44, v34, v111
	;; [unrolled: 1-line block ×4, first 2 shown]
	v_fmac_f32_e32 v47, -0.5, v34
	v_add_f32_e32 v36, v32, v108
	v_add_f32_e32 v32, v86, v108
	v_sub_f32_e32 v84, v103, v110
	v_mov_b32_e32 v34, v47
	v_fmac_f32_e32 v39, -0.5, v32
	v_add_f32_e32 v32, v38, v85
	v_sub_f32_e32 v45, v104, v111
	v_add_f32_e32 v83, v33, v110
	v_mov_b32_e32 v33, v46
	v_fmac_f32_e32 v34, 0xbf5db3d7, v84
	v_add_f32_e32 v40, v32, v107
	v_add_f32_e32 v32, v85, v107
	v_sub_f32_e32 v41, v85, v107
	v_fmac_f32_e32 v33, 0x3f5db3d7, v45
	v_mul_f32_e32 v85, 0x3f5db3d7, v34
	v_sub_f32_e32 v37, v86, v108
	v_fmac_f32_e32 v85, 0.5, v33
	v_mul_f32_e32 v86, 0xbf5db3d7, v33
	v_mul_u32_u24_e32 v33, 0xd8, v42
	v_fma_f32 v38, -0.5, v32, v38
	v_add_lshl_u32 v102, v33, v43, 3
	v_mov_b32_e32 v42, v38
	v_mov_b32_e32 v43, v39
	v_fmac_f32_e32 v86, 0.5, v34
	v_fmac_f32_e32 v42, 0x3f5db3d7, v37
	v_fmac_f32_e32 v43, 0xbf5db3d7, v41
	v_add_f32_e32 v32, v40, v83
	v_add_f32_e32 v33, v36, v44
	;; [unrolled: 1-line block ×4, first 2 shown]
	v_fmac_f32_e32 v46, 0xbf5db3d7, v45
	v_fmac_f32_e32 v47, 0x3f5db3d7, v84
	ds_write2_b64 v102, v[32:33], v[34:35] offset1:36
	v_sub_f32_e32 v33, v36, v44
	v_fmac_f32_e32 v38, 0xbf5db3d7, v37
	v_mul_f32_e32 v36, -0.5, v46
	v_mul_f32_e32 v37, -0.5, v47
	v_mad_u64_u32 v[103:104], s[8:9], v88, 40, s[10:11]
	v_fmac_f32_e32 v39, 0x3f5db3d7, v41
	v_fmac_f32_e32 v36, 0x3f5db3d7, v47
	;; [unrolled: 1-line block ×3, first 2 shown]
	v_sub_f32_e32 v32, v40, v83
	v_add_f32_e32 v34, v38, v36
	v_add_f32_e32 v35, v39, v37
	ds_write2_b64 v102, v[34:35], v[32:33] offset0:72 offset1:108
	v_sub_f32_e32 v33, v39, v37
	v_sub_f32_e32 v32, v38, v36
	;; [unrolled: 1-line block ×4, first 2 shown]
	ds_write2_b64 v102, v[34:35], v[32:33] offset0:144 offset1:180
	s_waitcnt lgkmcnt(0)
	s_barrier
	global_load_dwordx4 v[32:35], v[103:104], off offset:1680
	v_add_co_u32_e32 v40, vcc, s6, v103
	v_addc_co_u32_e32 v41, vcc, 0, v104, vcc
	global_load_dwordx4 v[36:39], v[40:41], off offset:1904
	global_load_dwordx4 v[44:47], v[103:104], off offset:1696
	s_movk_i32 s6, 0x1770
	v_add_co_u32_e32 v105, vcc, s6, v103
	v_addc_co_u32_e32 v106, vcc, 0, v104, vcc
	global_load_dwordx4 v[40:43], v[105:106], off offset:16
	global_load_dwordx2 v[85:86], v[103:104], off offset:1712
	global_load_dwordx2 v[83:84], v[105:106], off offset:32
	ds_read2_b64 v[103:106], v94 offset0:88 offset1:196
	s_movk_i32 s6, 0x2880
	s_waitcnt vmcnt(5) lgkmcnt(0)
	v_mul_f32_e32 v107, v104, v33
	v_fma_f32 v113, v103, v32, -v107
	ds_read2_b64 v[107:110], v93 offset0:48 offset1:156
	v_mul_f32_e32 v114, v103, v33
	s_waitcnt vmcnt(4)
	v_mul_f32_e32 v103, v106, v37
	v_fma_f32 v117, v105, v36, -v103
	v_mul_f32_e32 v118, v105, v37
	s_waitcnt lgkmcnt(0)
	v_mul_f32_e32 v103, v108, v35
	v_fmac_f32_e32 v114, v104, v32
	v_fmac_f32_e32 v118, v106, v36
	v_fma_f32 v111, v107, v34, -v103
	ds_read2_b64 v[103:106], v92 offset0:136 offset1:244
	v_mul_f32_e32 v112, v107, v35
	v_mul_f32_e32 v107, v110, v39
	v_fma_f32 v119, v109, v38, -v107
	v_mul_f32_e32 v120, v109, v39
	s_waitcnt vmcnt(3) lgkmcnt(0)
	v_mul_f32_e32 v107, v104, v45
	v_fmac_f32_e32 v112, v108, v34
	v_fmac_f32_e32 v120, v110, v38
	v_fma_f32 v115, v103, v44, -v107
	ds_read2_b64 v[107:110], v91 offset0:96 offset1:204
	v_mul_f32_e32 v116, v103, v45
	s_waitcnt vmcnt(2)
	v_mul_f32_e32 v103, v106, v41
	v_fma_f32 v121, v105, v40, -v103
	v_mul_f32_e32 v122, v105, v41
	s_waitcnt lgkmcnt(0)
	v_mul_f32_e32 v103, v108, v47
	v_fmac_f32_e32 v116, v104, v44
	v_fmac_f32_e32 v122, v106, v40
	v_fma_f32 v123, v107, v46, -v103
	ds_read2_b64 v[103:106], v90 offset0:56 offset1:164
	v_mul_f32_e32 v124, v107, v47
	v_mul_f32_e32 v107, v110, v43
	v_fma_f32 v125, v109, v42, -v107
	v_mul_f32_e32 v126, v109, v43
	s_waitcnt vmcnt(1) lgkmcnt(0)
	v_mul_f32_e32 v107, v104, v86
	v_fmac_f32_e32 v124, v108, v46
	v_fmac_f32_e32 v126, v110, v42
	v_fma_f32 v127, v103, v85, -v107
	ds_read2_b64 v[107:110], v89 offset1:108
	v_mul_f32_e32 v128, v103, v86
	s_waitcnt vmcnt(0)
	v_mul_f32_e32 v103, v106, v84
	v_fma_f32 v129, v105, v83, -v103
	v_mul_f32_e32 v130, v105, v84
	s_waitcnt lgkmcnt(0)
	v_add_f32_e32 v103, v107, v111
	v_add_f32_e32 v105, v103, v123
	;; [unrolled: 1-line block ×3, first 2 shown]
	v_fmac_f32_e32 v130, v106, v83
	v_add_f32_e32 v106, v103, v124
	v_add_f32_e32 v103, v113, v115
	v_fmac_f32_e32 v128, v104, v85
	v_add_f32_e32 v131, v103, v127
	v_add_f32_e32 v103, v114, v116
	;; [unrolled: 1-line block ×4, first 2 shown]
	v_sub_f32_e32 v105, v105, v131
	v_sub_f32_e32 v131, v112, v124
	v_add_f32_e32 v112, v112, v124
	v_add_f32_e32 v124, v111, v123
	v_sub_f32_e32 v123, v111, v123
	v_add_f32_e32 v111, v115, v127
	v_fmac_f32_e32 v113, -0.5, v111
	v_add_f32_e32 v111, v116, v128
	v_add_f32_e32 v104, v106, v132
	v_sub_f32_e32 v106, v106, v132
	v_sub_f32_e32 v132, v116, v128
	v_fmac_f32_e32 v114, -0.5, v111
	v_mov_b32_e32 v111, v113
	v_sub_f32_e32 v115, v115, v127
	v_fmac_f32_e32 v111, 0x3f5db3d7, v132
	v_mov_b32_e32 v116, v114
	v_fmac_f32_e32 v116, 0xbf5db3d7, v115
	v_mul_f32_e32 v128, 0xbf5db3d7, v111
	v_mul_f32_e32 v127, 0x3f5db3d7, v116
	v_fmac_f32_e32 v128, 0.5, v116
	v_fma_f32 v116, -0.5, v124, v107
	v_fma_f32 v124, -0.5, v112, v108
	v_fmac_f32_e32 v127, 0.5, v111
	v_mov_b32_e32 v111, v116
	v_mov_b32_e32 v112, v124
	v_fmac_f32_e32 v113, 0xbf5db3d7, v132
	v_fmac_f32_e32 v114, 0x3f5db3d7, v115
	;; [unrolled: 1-line block ×5, first 2 shown]
	v_mul_f32_e32 v115, -0.5, v113
	v_mul_f32_e32 v123, -0.5, v114
	v_add_f32_e32 v107, v111, v127
	v_add_f32_e32 v108, v112, v128
	v_fmac_f32_e32 v116, 0xbf5db3d7, v131
	v_fmac_f32_e32 v115, 0x3f5db3d7, v114
	;; [unrolled: 1-line block ×3, first 2 shown]
	v_sub_f32_e32 v111, v111, v127
	v_sub_f32_e32 v112, v112, v128
	v_add_f32_e32 v113, v116, v115
	v_add_f32_e32 v114, v124, v123
	v_sub_f32_e32 v115, v116, v115
	v_sub_f32_e32 v116, v124, v123
	ds_write_b64 v89, v[107:108] offset:1728
	ds_write_b64 v89, v[113:114] offset:3456
	;; [unrolled: 1-line block ×5, first 2 shown]
	v_add_f32_e32 v105, v109, v119
	v_add_f32_e32 v107, v105, v125
	;; [unrolled: 1-line block ×10, first 2 shown]
	ds_write2_b64 v89, v[103:104], v[105:106] offset1:108
	v_add_f32_e32 v104, v121, v129
	v_fmac_f32_e32 v117, -0.5, v104
	v_add_f32_e32 v104, v122, v130
	v_add_f32_e32 v103, v120, v126
	v_fmac_f32_e32 v118, -0.5, v104
	v_sub_f32_e32 v115, v121, v129
	v_fmac_f32_e32 v110, -0.5, v103
	v_add_f32_e32 v103, v119, v125
	v_sub_f32_e32 v113, v119, v125
	v_sub_f32_e32 v114, v122, v130
	v_mov_b32_e32 v119, v118
	v_fmac_f32_e32 v118, 0x3f5db3d7, v115
	v_fma_f32 v105, -0.5, v103, v109
	v_mov_b32_e32 v109, v117
	v_fmac_f32_e32 v117, 0xbf5db3d7, v114
	v_mul_f32_e32 v103, -0.5, v118
	v_mov_b32_e32 v116, v110
	v_fmac_f32_e32 v110, 0x3f5db3d7, v113
	v_fmac_f32_e32 v103, 0xbf5db3d7, v117
	v_mul_f32_e32 v117, -0.5, v117
	v_fmac_f32_e32 v109, 0x3f5db3d7, v114
	v_fmac_f32_e32 v119, 0xbf5db3d7, v115
	v_add_f32_e32 v104, v110, v103
	v_sub_f32_e32 v106, v110, v103
	v_sub_f32_e32 v110, v120, v126
	v_fmac_f32_e32 v117, 0x3f5db3d7, v118
	v_mov_b32_e32 v118, v105
	v_sub_f32_e32 v107, v107, v111
	v_sub_f32_e32 v108, v108, v112
	v_mul_f32_e32 v111, 0x3f5db3d7, v119
	v_mul_f32_e32 v112, 0xbf5db3d7, v109
	v_fmac_f32_e32 v118, 0x3f5db3d7, v110
	v_fmac_f32_e32 v116, 0xbf5db3d7, v113
	v_fmac_f32_e32 v111, 0.5, v109
	v_fmac_f32_e32 v112, 0.5, v119
	v_fmac_f32_e32 v105, 0xbf5db3d7, v110
	v_add_f32_e32 v109, v118, v111
	v_add_f32_e32 v110, v116, v112
	;; [unrolled: 1-line block ×3, first 2 shown]
	v_sub_f32_e32 v105, v105, v117
	v_sub_f32_e32 v111, v118, v111
	;; [unrolled: 1-line block ×3, first 2 shown]
	ds_write_b64 v89, v[109:110] offset:2592
	ds_write_b64 v89, v[103:104] offset:4320
	;; [unrolled: 1-line block ×5, first 2 shown]
	s_waitcnt lgkmcnt(0)
	s_barrier
	global_load_dwordx2 v[81:82], v[81:82], off offset:2176
	v_add_co_u32_e32 v103, vcc, s6, v95
	v_addc_co_u32_e32 v104, vcc, 0, v96, vcc
	global_load_dwordx2 v[111:112], v[103:104], off offset:864
	global_load_dwordx2 v[113:114], v[103:104], off offset:1728
	;; [unrolled: 1-line block ×4, first 2 shown]
	s_movk_i32 s6, 0x3000
	v_add_co_u32_e32 v103, vcc, s6, v95
	v_addc_co_u32_e32 v104, vcc, 0, v96, vcc
	global_load_dwordx2 v[119:120], v[103:104], off offset:2400
	global_load_dwordx2 v[121:122], v[103:104], off offset:3264
	s_movk_i32 s6, 0x4000
	v_add_co_u32_e32 v95, vcc, s6, v95
	v_addc_co_u32_e32 v96, vcc, 0, v96, vcc
	global_load_dwordx2 v[123:124], v[95:96], off offset:32
	global_load_dwordx2 v[125:126], v[95:96], off offset:896
	;; [unrolled: 1-line block ×5, first 2 shown]
	ds_read2_b64 v[103:106], v89 offset1:108
	s_waitcnt vmcnt(11) lgkmcnt(0)
	v_mul_f32_e32 v95, v104, v82
	v_mul_f32_e32 v96, v103, v82
	v_fma_f32 v95, v103, v81, -v95
	v_fmac_f32_e32 v96, v104, v81
	ds_write_b64 v89, v[95:96]
	ds_read2_b64 v[107:110], v94 offset0:88 offset1:196
	s_waitcnt vmcnt(10)
	v_mul_f32_e32 v81, v106, v112
	v_mul_f32_e32 v82, v105, v112
	v_fma_f32 v81, v105, v111, -v81
	v_fmac_f32_e32 v82, v106, v111
	ds_read2_b64 v[103:106], v93 offset0:48 offset1:156
	s_waitcnt vmcnt(9) lgkmcnt(1)
	v_mul_f32_e32 v95, v108, v114
	v_fma_f32 v95, v107, v113, -v95
	v_mul_f32_e32 v96, v107, v114
	s_waitcnt vmcnt(8)
	v_mul_f32_e32 v107, v110, v116
	v_fma_f32 v111, v109, v115, -v107
	v_mul_f32_e32 v112, v109, v116
	s_waitcnt vmcnt(7) lgkmcnt(0)
	v_mul_f32_e32 v107, v104, v118
	v_fmac_f32_e32 v96, v108, v113
	v_fmac_f32_e32 v112, v110, v115
	v_fma_f32 v113, v103, v117, -v107
	ds_read2_b64 v[107:110], v92 offset0:136 offset1:244
	v_mul_f32_e32 v114, v103, v118
	s_waitcnt vmcnt(6)
	v_mul_f32_e32 v103, v106, v120
	v_fma_f32 v115, v105, v119, -v103
	v_mul_f32_e32 v116, v105, v120
	s_waitcnt vmcnt(5) lgkmcnt(0)
	v_mul_f32_e32 v103, v108, v122
	v_fmac_f32_e32 v114, v104, v117
	v_fmac_f32_e32 v116, v106, v119
	v_fma_f32 v117, v107, v121, -v103
	ds_read2_b64 v[103:106], v91 offset0:96 offset1:204
	;; [unrolled: 11-line block ×3, first 2 shown]
	v_mul_f32_e32 v122, v103, v126
	s_waitcnt vmcnt(2)
	v_mul_f32_e32 v103, v106, v128
	v_fmac_f32_e32 v122, v104, v125
	v_fma_f32 v103, v105, v127, -v103
	v_mul_f32_e32 v104, v105, v128
	s_waitcnt vmcnt(1) lgkmcnt(0)
	v_mul_f32_e32 v105, v108, v130
	v_fmac_f32_e32 v104, v106, v127
	v_fma_f32 v105, v107, v129, -v105
	v_mul_f32_e32 v106, v107, v130
	s_waitcnt vmcnt(0)
	v_mul_f32_e32 v107, v110, v132
	v_fmac_f32_e32 v106, v108, v129
	v_fma_f32 v107, v109, v131, -v107
	v_mul_f32_e32 v108, v109, v132
	v_add_u32_e32 v109, 0x800, v89
	ds_write2_b64 v109, v[111:112], v[113:114] offset0:68 offset1:176
	v_add_u32_e32 v109, 0x1400, v89
	v_fmac_f32_e32 v108, v110, v131
	ds_write2_b64 v109, v[119:120], v[121:122] offset0:116 offset1:224
	v_add_u32_e32 v109, 0x1c00, v89
	ds_write2_b64 v109, v[103:104], v[105:106] offset0:76 offset1:184
	ds_write2_b64 v89, v[81:82], v[95:96] offset0:108 offset1:216
	;; [unrolled: 1-line block ×3, first 2 shown]
	ds_write_b64 v89, v[107:108] offset:9504
	s_waitcnt lgkmcnt(0)
	s_barrier
	ds_read2_b64 v[103:106], v92 offset0:136 offset1:244
	ds_read2_b64 v[107:110], v90 offset0:56 offset1:164
	;; [unrolled: 1-line block ×3, first 2 shown]
	ds_read2_b64 v[115:118], v89 offset1:108
	ds_read2_b64 v[119:122], v93 offset0:48 offset1:156
	ds_read2_b64 v[123:126], v91 offset0:96 offset1:204
	s_waitcnt lgkmcnt(0)
	s_barrier
	v_add_f32_e32 v96, v104, v108
	v_add_f32_e32 v81, v103, v107
	v_fma_f32 v96, -0.5, v96, v112
	v_fma_f32 v81, -0.5, v81, v111
	v_sub_f32_e32 v131, v103, v107
	v_mov_b32_e32 v127, v96
	v_sub_f32_e32 v82, v104, v108
	v_mov_b32_e32 v95, v81
	v_fmac_f32_e32 v127, 0x3f5db3d7, v131
	v_fmac_f32_e32 v95, 0xbf5db3d7, v82
	v_mul_f32_e32 v132, 0xbf5db3d7, v127
	v_mul_f32_e32 v133, 0.5, v127
	v_add_f32_e32 v127, v119, v123
	v_fmac_f32_e32 v132, 0.5, v95
	v_fmac_f32_e32 v133, 0x3f5db3d7, v95
	v_add_f32_e32 v95, v115, v119
	v_fma_f32 v115, -0.5, v127, v115
	v_sub_f32_e32 v134, v120, v124
	v_add_f32_e32 v127, v116, v120
	v_add_f32_e32 v120, v120, v124
	v_fma_f32 v116, -0.5, v120, v116
	v_mov_b32_e32 v135, v115
	v_sub_f32_e32 v119, v119, v123
	v_mov_b32_e32 v120, v116
	v_add_f32_e32 v103, v111, v103
	v_add_f32_e32 v104, v112, v104
	v_add_f32_e32 v95, v95, v123
	v_fmac_f32_e32 v135, 0xbf5db3d7, v134
	v_add_f32_e32 v136, v127, v124
	v_fmac_f32_e32 v120, 0x3f5db3d7, v119
	v_add_f32_e32 v103, v103, v107
	v_add_f32_e32 v104, v104, v108
	;; [unrolled: 1-line block ×6, first 2 shown]
	v_fmac_f32_e32 v96, 0xbf5db3d7, v131
	ds_write_b128 v100, v[127:130]
	v_sub_f32_e32 v129, v95, v103
	v_fmac_f32_e32 v81, 0x3f5db3d7, v82
	v_mul_f32_e32 v82, 0xbf5db3d7, v96
	v_mul_f32_e32 v95, -0.5, v96
	v_fmac_f32_e32 v115, 0x3f5db3d7, v134
	v_fmac_f32_e32 v116, 0xbf5db3d7, v119
	v_fmac_f32_e32 v82, -0.5, v81
	v_fmac_f32_e32 v95, 0x3f5db3d7, v81
	v_sub_f32_e32 v130, v136, v104
	v_add_f32_e32 v127, v115, v82
	v_add_f32_e32 v128, v116, v95
	ds_write_b128 v100, v[127:130] offset:16
	v_sub_f32_e32 v127, v135, v132
	v_sub_f32_e32 v129, v115, v82
	;; [unrolled: 1-line block ×5, first 2 shown]
	v_add_f32_e32 v111, v114, v106
	v_add_f32_e32 v106, v106, v110
	ds_write_b128 v100, v[127:130] offset:32
	v_add_f32_e32 v100, v122, v126
	v_add_f32_e32 v104, v105, v109
	v_fmac_f32_e32 v114, -0.5, v106
	v_add_f32_e32 v82, v121, v125
	v_add_f32_e32 v96, v118, v122
	;; [unrolled: 1-line block ×3, first 2 shown]
	v_sub_f32_e32 v112, v105, v109
	v_fmac_f32_e32 v118, -0.5, v100
	v_fma_f32 v100, -0.5, v104, v113
	v_mov_b32_e32 v104, v114
	v_add_f32_e32 v109, v103, v109
	v_mov_b32_e32 v103, v100
	v_fmac_f32_e32 v104, 0x3f5db3d7, v112
	v_fma_f32 v82, -0.5, v82, v117
	v_add_f32_e32 v81, v117, v121
	v_sub_f32_e32 v95, v122, v126
	v_sub_f32_e32 v107, v121, v125
	v_add_f32_e32 v110, v111, v110
	v_fmac_f32_e32 v103, 0xbf5db3d7, v108
	v_mul_f32_e32 v111, 0xbf5db3d7, v104
	v_mul_f32_e32 v113, 0.5, v104
	v_mov_b32_e32 v115, v82
	v_mov_b32_e32 v116, v118
	v_fmac_f32_e32 v114, 0xbf5db3d7, v112
	v_add_f32_e32 v81, v81, v125
	v_add_f32_e32 v96, v96, v126
	v_fmac_f32_e32 v111, 0.5, v103
	v_fmac_f32_e32 v113, 0x3f5db3d7, v103
	v_fmac_f32_e32 v115, 0xbf5db3d7, v95
	;; [unrolled: 1-line block ×3, first 2 shown]
	v_mul_f32_e32 v112, 0xbf5db3d7, v114
	v_mul_f32_e32 v114, -0.5, v114
	v_fmac_f32_e32 v100, 0x3f5db3d7, v108
	v_add_f32_e32 v103, v81, v109
	v_add_f32_e32 v105, v115, v111
	;; [unrolled: 1-line block ×4, first 2 shown]
	v_fmac_f32_e32 v82, 0x3f5db3d7, v95
	v_fmac_f32_e32 v118, 0xbf5db3d7, v107
	v_fmac_f32_e32 v112, -0.5, v100
	v_fmac_f32_e32 v114, 0x3f5db3d7, v100
	ds_write_b128 v97, v[103:106]
	v_sub_f32_e32 v105, v81, v109
	v_sub_f32_e32 v106, v96, v110
	v_add_f32_e32 v103, v82, v112
	v_add_f32_e32 v104, v118, v114
	ds_write_b128 v97, v[103:106] offset:16
	v_sub_f32_e32 v106, v118, v114
	v_sub_f32_e32 v103, v115, v111
	;; [unrolled: 1-line block ×4, first 2 shown]
	ds_write_b128 v97, v[103:106] offset:32
	s_waitcnt lgkmcnt(0)
	s_barrier
	ds_read2_b64 v[103:106], v94 offset0:88 offset1:196
	ds_read2_b64 v[107:110], v93 offset0:48 offset1:156
	s_waitcnt lgkmcnt(1)
	v_mul_f32_e32 v81, v13, v104
	v_mul_f32_e32 v13, v13, v103
	v_fmac_f32_e32 v81, v12, v103
	v_fma_f32 v82, v12, v104, -v13
	s_waitcnt lgkmcnt(0)
	v_mul_f32_e32 v95, v15, v108
	v_mul_f32_e32 v12, v15, v107
	;; [unrolled: 1-line block ×4, first 2 shown]
	v_fmac_f32_e32 v95, v14, v107
	v_fma_f32 v96, v14, v108, -v12
	v_fmac_f32_e32 v97, v8, v105
	v_fma_f32 v100, v8, v106, -v9
	v_mul_f32_e32 v103, v11, v110
	ds_read2_b64 v[12:15], v92 offset0:136 offset1:244
	v_mul_f32_e32 v8, v11, v109
	v_fmac_f32_e32 v103, v10, v109
	v_fma_f32 v104, v10, v110, -v8
	ds_read2_b64 v[8:11], v91 offset0:96 offset1:204
	s_waitcnt lgkmcnt(1)
	v_mul_f32_e32 v105, v5, v13
	v_mul_f32_e32 v5, v5, v12
	v_fmac_f32_e32 v105, v4, v12
	v_fma_f32 v12, v4, v13, -v5
	s_waitcnt lgkmcnt(0)
	v_mul_f32_e32 v13, v7, v9
	v_mul_f32_e32 v4, v7, v8
	v_fmac_f32_e32 v13, v6, v8
	v_fma_f32 v8, v6, v9, -v4
	ds_read2_b64 v[4:7], v90 offset0:56 offset1:164
	v_mul_f32_e32 v9, v1, v15
	v_mul_f32_e32 v1, v1, v14
	v_fmac_f32_e32 v9, v0, v14
	v_fma_f32 v14, v0, v15, -v1
	v_mul_f32_e32 v15, v3, v11
	v_mul_f32_e32 v0, v3, v10
	v_fmac_f32_e32 v15, v2, v10
	v_fma_f32 v10, v2, v11, -v0
	s_waitcnt lgkmcnt(0)
	v_mul_f32_e32 v11, v76, v5
	v_mul_f32_e32 v0, v76, v4
	v_fmac_f32_e32 v11, v75, v4
	v_fma_f32 v4, v75, v5, -v0
	ds_read2_b64 v[0:3], v89 offset1:108
	v_mul_f32_e32 v75, v74, v7
	v_mul_f32_e32 v5, v74, v6
	v_fmac_f32_e32 v75, v73, v6
	v_fma_f32 v6, v73, v7, -v5
	s_waitcnt lgkmcnt(0)
	v_add_f32_e32 v5, v1, v96
	v_add_f32_e32 v7, v5, v8
	v_sub_f32_e32 v73, v96, v8
	v_add_f32_e32 v5, v96, v8
	v_add_f32_e32 v8, v0, v95
	v_add_f32_e32 v8, v8, v13
	v_add_f32_e32 v74, v95, v13
	v_sub_f32_e32 v13, v95, v13
	v_add_f32_e32 v95, v105, v11
	v_add_f32_e32 v76, v81, v105
	v_fmac_f32_e32 v81, -0.5, v95
	v_add_f32_e32 v95, v82, v12
	v_add_f32_e32 v95, v95, v4
	v_sub_f32_e32 v96, v12, v4
	v_add_f32_e32 v4, v12, v4
	v_fmac_f32_e32 v82, -0.5, v4
	v_add_f32_e32 v12, v76, v11
	v_sub_f32_e32 v11, v105, v11
	v_mov_b32_e32 v76, v82
	v_mov_b32_e32 v4, v81
	v_fmac_f32_e32 v76, 0x3f5db3d7, v11
	v_fma_f32 v74, -0.5, v74, v0
	v_fma_f32 v107, -0.5, v5, v1
	v_fmac_f32_e32 v4, 0xbf5db3d7, v96
	v_mul_f32_e32 v105, 0xbf5db3d7, v76
	v_mul_f32_e32 v76, 0.5, v76
	v_mov_b32_e32 v106, v74
	v_mov_b32_e32 v108, v107
	v_fmac_f32_e32 v105, 0.5, v4
	v_fmac_f32_e32 v76, 0x3f5db3d7, v4
	v_fmac_f32_e32 v106, 0xbf5db3d7, v73
	;; [unrolled: 1-line block ×3, first 2 shown]
	v_add_f32_e32 v0, v8, v12
	v_add_f32_e32 v1, v7, v95
	;; [unrolled: 1-line block ×4, first 2 shown]
	v_fmac_f32_e32 v82, 0xbf5db3d7, v11
	s_barrier
	ds_write2_b64 v98, v[0:1], v[4:5] offset1:6
	v_sub_f32_e32 v0, v8, v12
	v_sub_f32_e32 v1, v7, v95
	v_fmac_f32_e32 v81, 0x3f5db3d7, v96
	v_mul_f32_e32 v7, 0xbf5db3d7, v82
	v_mul_f32_e32 v8, -0.5, v82
	v_fmac_f32_e32 v74, 0x3f5db3d7, v73
	v_fmac_f32_e32 v107, 0xbf5db3d7, v13
	v_fmac_f32_e32 v7, -0.5, v81
	v_fmac_f32_e32 v8, 0x3f5db3d7, v81
	v_add_f32_e32 v4, v74, v7
	v_add_f32_e32 v5, v107, v8
	ds_write2_b64 v98, v[4:5], v[0:1] offset0:12 offset1:18
	v_sub_f32_e32 v0, v106, v105
	v_sub_f32_e32 v1, v108, v76
	;; [unrolled: 1-line block ×4, first 2 shown]
	ds_write2_b64 v98, v[0:1], v[4:5] offset0:24 offset1:30
	v_add_f32_e32 v4, v9, v75
	v_add_f32_e32 v0, v3, v104
	;; [unrolled: 1-line block ×3, first 2 shown]
	v_fmac_f32_e32 v97, -0.5, v4
	v_add_f32_e32 v4, v100, v14
	v_add_f32_e32 v7, v0, v10
	;; [unrolled: 1-line block ×5, first 2 shown]
	v_fmac_f32_e32 v3, -0.5, v0
	v_add_f32_e32 v0, v2, v103
	v_fmac_f32_e32 v100, -0.5, v4
	v_sub_f32_e32 v8, v104, v10
	v_add_f32_e32 v10, v0, v15
	v_add_f32_e32 v0, v103, v15
	v_sub_f32_e32 v9, v9, v75
	v_mov_b32_e32 v4, v100
	v_sub_f32_e32 v13, v14, v6
	v_add_f32_e32 v6, v1, v75
	v_mov_b32_e32 v1, v97
	v_fmac_f32_e32 v4, 0x3f5db3d7, v9
	v_fma_f32 v2, -0.5, v0, v2
	v_sub_f32_e32 v11, v103, v15
	v_fmac_f32_e32 v1, 0xbf5db3d7, v13
	v_mul_f32_e32 v14, 0xbf5db3d7, v4
	v_mul_f32_e32 v15, 0.5, v4
	v_mov_b32_e32 v73, v2
	v_mov_b32_e32 v74, v3
	v_fmac_f32_e32 v14, 0.5, v1
	v_fmac_f32_e32 v15, 0x3f5db3d7, v1
	v_fmac_f32_e32 v73, 0xbf5db3d7, v8
	;; [unrolled: 1-line block ×3, first 2 shown]
	v_add_f32_e32 v0, v10, v6
	v_add_f32_e32 v1, v7, v12
	;; [unrolled: 1-line block ×4, first 2 shown]
	v_fmac_f32_e32 v100, 0xbf5db3d7, v9
	ds_write2_b64 v101, v[0:1], v[4:5] offset1:6
	v_sub_f32_e32 v0, v10, v6
	v_sub_f32_e32 v1, v7, v12
	v_fmac_f32_e32 v97, 0x3f5db3d7, v13
	v_mul_f32_e32 v6, 0xbf5db3d7, v100
	v_mul_f32_e32 v7, -0.5, v100
	v_fmac_f32_e32 v2, 0x3f5db3d7, v8
	v_fmac_f32_e32 v3, 0xbf5db3d7, v11
	v_fmac_f32_e32 v6, -0.5, v97
	v_fmac_f32_e32 v7, 0x3f5db3d7, v97
	v_add_f32_e32 v4, v2, v6
	v_add_f32_e32 v5, v3, v7
	ds_write2_b64 v101, v[4:5], v[0:1] offset0:12 offset1:18
	v_sub_f32_e32 v1, v3, v7
	v_sub_f32_e32 v0, v2, v6
	;; [unrolled: 1-line block ×4, first 2 shown]
	ds_write2_b64 v101, v[2:3], v[0:1] offset0:24 offset1:30
	s_waitcnt lgkmcnt(0)
	s_barrier
	ds_read2_b64 v[0:3], v94 offset0:88 offset1:196
	ds_read2_b64 v[4:7], v93 offset0:48 offset1:156
	s_waitcnt lgkmcnt(1)
	v_mul_f32_e32 v8, v29, v1
	v_fmac_f32_e32 v8, v28, v0
	v_mul_f32_e32 v0, v29, v0
	v_fma_f32 v9, v28, v1, -v0
	s_waitcnt lgkmcnt(0)
	v_mul_f32_e32 v0, v31, v4
	v_fma_f32 v11, v30, v5, -v0
	v_mul_f32_e32 v12, v21, v3
	v_mul_f32_e32 v0, v21, v2
	;; [unrolled: 1-line block ×3, first 2 shown]
	v_fmac_f32_e32 v12, v20, v2
	v_fma_f32 v13, v20, v3, -v0
	ds_read2_b64 v[0:3], v92 offset0:136 offset1:244
	v_fmac_f32_e32 v10, v30, v4
	v_mul_f32_e32 v14, v23, v7
	v_mul_f32_e32 v4, v23, v6
	v_fmac_f32_e32 v14, v22, v6
	v_fma_f32 v15, v22, v7, -v4
	ds_read2_b64 v[4:7], v91 offset0:96 offset1:204
	s_waitcnt lgkmcnt(1)
	v_mul_f32_e32 v20, v25, v1
	v_fmac_f32_e32 v20, v24, v0
	v_mul_f32_e32 v0, v25, v0
	v_fma_f32 v21, v24, v1, -v0
	s_waitcnt lgkmcnt(0)
	v_mul_f32_e32 v0, v27, v4
	v_fma_f32 v23, v26, v5, -v0
	v_mul_f32_e32 v24, v17, v3
	v_mul_f32_e32 v0, v17, v2
	v_fmac_f32_e32 v24, v16, v2
	v_fma_f32 v16, v16, v3, -v0
	ds_read2_b64 v[0:3], v90 offset0:56 offset1:164
	v_mul_f32_e32 v22, v27, v5
	v_fmac_f32_e32 v22, v26, v4
	v_mul_f32_e32 v17, v19, v7
	v_mul_f32_e32 v4, v19, v6
	v_fmac_f32_e32 v17, v18, v6
	v_fma_f32 v18, v18, v7, -v4
	ds_read2_b64 v[4:7], v89 offset1:108
	s_waitcnt lgkmcnt(1)
	v_mul_f32_e32 v19, v80, v1
	v_fmac_f32_e32 v19, v79, v0
	v_mul_f32_e32 v0, v80, v0
	v_fma_f32 v0, v79, v1, -v0
	v_mul_f32_e32 v25, v78, v3
	v_mul_f32_e32 v1, v78, v2
	v_fmac_f32_e32 v25, v77, v2
	v_fma_f32 v26, v77, v3, -v1
	s_waitcnt lgkmcnt(0)
	v_add_f32_e32 v1, v5, v11
	v_add_f32_e32 v2, v4, v10
	;; [unrolled: 1-line block ×3, first 2 shown]
	v_sub_f32_e32 v28, v11, v23
	v_add_f32_e32 v1, v11, v23
	v_add_f32_e32 v11, v2, v22
	;; [unrolled: 1-line block ×3, first 2 shown]
	v_sub_f32_e32 v10, v10, v22
	v_add_f32_e32 v22, v20, v19
	v_add_f32_e32 v3, v8, v20
	v_fmac_f32_e32 v8, -0.5, v22
	v_add_f32_e32 v22, v9, v21
	v_add_f32_e32 v22, v22, v0
	v_sub_f32_e32 v23, v21, v0
	v_add_f32_e32 v0, v21, v0
	v_fmac_f32_e32 v9, -0.5, v0
	v_add_f32_e32 v21, v3, v19
	v_sub_f32_e32 v19, v20, v19
	v_mov_b32_e32 v3, v9
	v_mov_b32_e32 v0, v8
	v_fmac_f32_e32 v3, 0x3f5db3d7, v19
	v_fma_f32 v30, -0.5, v2, v4
	v_fma_f32 v73, -0.5, v1, v5
	v_fmac_f32_e32 v0, 0xbf5db3d7, v23
	v_mul_f32_e32 v20, 0xbf5db3d7, v3
	v_mul_f32_e32 v29, 0.5, v3
	v_mov_b32_e32 v31, v30
	v_mov_b32_e32 v74, v73
	v_fmac_f32_e32 v20, 0.5, v0
	v_fmac_f32_e32 v29, 0x3f5db3d7, v0
	v_fmac_f32_e32 v31, 0xbf5db3d7, v28
	;; [unrolled: 1-line block ×3, first 2 shown]
	v_add_f32_e32 v0, v11, v21
	v_add_f32_e32 v1, v27, v22
	;; [unrolled: 1-line block ×4, first 2 shown]
	s_barrier
	ds_write2_b64 v99, v[0:1], v[2:3] offset1:36
	v_add_f32_e32 v1, v15, v18
	v_add_f32_e32 v0, v7, v15
	v_fmac_f32_e32 v7, -0.5, v1
	v_add_f32_e32 v1, v24, v25
	v_add_f32_e32 v2, v12, v24
	v_fmac_f32_e32 v12, -0.5, v1
	;; [unrolled: 3-line block ×3, first 2 shown]
	v_add_f32_e32 v1, v14, v17
	v_fma_f32 v76, -0.5, v1, v6
	v_sub_f32_e32 v24, v24, v25
	v_mov_b32_e32 v80, v13
	v_add_f32_e32 v77, v6, v14
	v_sub_f32_e32 v14, v14, v17
	v_mov_b32_e32 v78, v7
	v_sub_f32_e32 v16, v16, v26
	v_mov_b32_e32 v79, v12
	v_fmac_f32_e32 v13, 0xbf5db3d7, v24
	v_fmac_f32_e32 v9, 0xbf5db3d7, v19
	v_sub_f32_e32 v15, v15, v18
	v_mov_b32_e32 v19, v76
	v_fmac_f32_e32 v80, 0x3f5db3d7, v24
	v_fmac_f32_e32 v7, 0xbf5db3d7, v14
	;; [unrolled: 1-line block ×3, first 2 shown]
	v_mul_f32_e32 v3, -0.5, v13
	v_sub_f32_e32 v4, v11, v21
	v_sub_f32_e32 v5, v27, v22
	v_fmac_f32_e32 v73, 0xbf5db3d7, v10
	v_fmac_f32_e32 v8, 0x3f5db3d7, v23
	v_mul_f32_e32 v10, 0xbf5db3d7, v9
	v_mul_f32_e32 v11, -0.5, v9
	v_fmac_f32_e32 v19, 0xbf5db3d7, v15
	v_fmac_f32_e32 v76, 0x3f5db3d7, v15
	v_add_f32_e32 v15, v0, v18
	v_fmac_f32_e32 v78, 0x3f5db3d7, v14
	v_add_f32_e32 v14, v2, v25
	v_fmac_f32_e32 v79, 0xbf5db3d7, v16
	v_mul_f32_e32 v18, 0xbf5db3d7, v80
	v_mul_f32_e32 v2, 0xbf5db3d7, v13
	v_mul_f32_e32 v22, 0.5, v80
	v_fmac_f32_e32 v3, 0x3f5db3d7, v12
	v_fmac_f32_e32 v30, 0x3f5db3d7, v28
	v_fmac_f32_e32 v10, -0.5, v8
	v_fmac_f32_e32 v11, 0x3f5db3d7, v8
	v_add_f32_e32 v17, v77, v17
	v_add_f32_e32 v16, v75, v26
	v_fmac_f32_e32 v18, 0.5, v79
	v_fmac_f32_e32 v2, -0.5, v12
	v_fmac_f32_e32 v22, 0x3f5db3d7, v79
	v_add_f32_e32 v1, v7, v3
	v_sub_f32_e32 v3, v7, v3
	v_sub_f32_e32 v6, v31, v20
	;; [unrolled: 1-line block ×3, first 2 shown]
	v_add_f32_e32 v8, v30, v10
	v_add_f32_e32 v9, v73, v11
	v_sub_f32_e32 v10, v30, v10
	v_sub_f32_e32 v11, v73, v11
	v_add_f32_e32 v0, v76, v2
	v_sub_f32_e32 v2, v76, v2
	v_add_f32_e32 v12, v17, v14
	v_add_f32_e32 v13, v15, v16
	v_sub_f32_e32 v14, v17, v14
	v_sub_f32_e32 v15, v15, v16
	v_add_f32_e32 v16, v19, v18
	v_add_f32_e32 v17, v78, v22
	v_sub_f32_e32 v18, v19, v18
	v_sub_f32_e32 v19, v78, v22
	ds_write2_b64 v99, v[8:9], v[4:5] offset0:72 offset1:108
	ds_write2_b64 v99, v[6:7], v[10:11] offset0:144 offset1:180
	ds_write2_b64 v102, v[12:13], v[16:17] offset1:36
	ds_write2_b64 v102, v[0:1], v[14:15] offset0:72 offset1:108
	ds_write2_b64 v102, v[18:19], v[2:3] offset0:144 offset1:180
	s_waitcnt lgkmcnt(0)
	s_barrier
	ds_read2_b64 v[0:3], v94 offset0:88 offset1:196
	ds_read2_b64 v[4:7], v93 offset0:48 offset1:156
	;; [unrolled: 1-line block ×5, first 2 shown]
	s_waitcnt lgkmcnt(4)
	v_mul_f32_e32 v22, v33, v1
	v_fmac_f32_e32 v22, v32, v0
	v_mul_f32_e32 v0, v33, v0
	v_fma_f32 v23, v32, v1, -v0
	s_waitcnt lgkmcnt(3)
	v_mul_f32_e32 v24, v35, v5
	v_mul_f32_e32 v0, v35, v4
	v_fmac_f32_e32 v24, v34, v4
	v_fma_f32 v4, v34, v5, -v0
	s_waitcnt lgkmcnt(2)
	v_mul_f32_e32 v5, v45, v9
	v_mul_f32_e32 v0, v45, v8
	v_fmac_f32_e32 v5, v44, v8
	;; [unrolled: 5-line block ×3, first 2 shown]
	v_fma_f32 v12, v46, v13, -v0
	s_waitcnt lgkmcnt(0)
	v_mul_f32_e32 v13, v86, v17
	v_mul_f32_e32 v25, v37, v3
	;; [unrolled: 1-line block ×3, first 2 shown]
	v_fmac_f32_e32 v13, v85, v16
	v_mul_f32_e32 v16, v86, v16
	v_fmac_f32_e32 v25, v36, v2
	v_fma_f32 v26, v36, v3, -v0
	ds_read2_b64 v[0:3], v89 offset1:108
	v_fma_f32 v16, v85, v17, -v16
	v_mul_f32_e32 v17, v39, v7
	v_fmac_f32_e32 v17, v38, v6
	v_mul_f32_e32 v6, v39, v6
	v_fma_f32 v27, v38, v7, -v6
	v_mul_f32_e32 v6, v41, v10
	v_fma_f32 v29, v40, v11, -v6
	v_mul_f32_e32 v30, v43, v15
	v_mul_f32_e32 v6, v43, v14
	v_fmac_f32_e32 v30, v42, v14
	v_fma_f32 v14, v42, v15, -v6
	v_mul_f32_e32 v15, v84, v19
	v_mul_f32_e32 v6, v84, v18
	;; [unrolled: 1-line block ×3, first 2 shown]
	v_fmac_f32_e32 v15, v83, v18
	v_fma_f32 v18, v83, v19, -v6
	s_waitcnt lgkmcnt(0)
	v_add_f32_e32 v6, v0, v24
	v_fmac_f32_e32 v28, v40, v10
	v_add_f32_e32 v10, v6, v9
	v_add_f32_e32 v6, v24, v9
	v_fma_f32 v11, -0.5, v6, v0
	v_sub_f32_e32 v0, v4, v12
	v_mov_b32_e32 v19, v11
	v_fmac_f32_e32 v19, 0xbf5db3d7, v0
	v_fmac_f32_e32 v11, 0x3f5db3d7, v0
	v_add_f32_e32 v0, v1, v4
	v_add_f32_e32 v31, v0, v12
	;; [unrolled: 1-line block ×3, first 2 shown]
	v_fma_f32 v32, -0.5, v0, v1
	v_sub_f32_e32 v0, v24, v9
	v_mov_b32_e32 v24, v32
	v_fmac_f32_e32 v24, 0x3f5db3d7, v0
	v_fmac_f32_e32 v32, 0xbf5db3d7, v0
	v_add_f32_e32 v0, v22, v5
	v_add_f32_e32 v9, v0, v13
	;; [unrolled: 1-line block ×3, first 2 shown]
	v_fmac_f32_e32 v22, -0.5, v0
	v_sub_f32_e32 v0, v8, v16
	v_mov_b32_e32 v7, v22
	v_fmac_f32_e32 v7, 0xbf5db3d7, v0
	v_fmac_f32_e32 v22, 0x3f5db3d7, v0
	v_add_f32_e32 v0, v23, v8
	v_add_f32_e32 v33, v0, v16
	;; [unrolled: 1-line block ×3, first 2 shown]
	v_fmac_f32_e32 v23, -0.5, v0
	v_sub_f32_e32 v0, v5, v13
	v_mov_b32_e32 v5, v23
	v_fmac_f32_e32 v5, 0x3f5db3d7, v0
	v_fmac_f32_e32 v23, 0xbf5db3d7, v0
	v_mul_f32_e32 v12, 0xbf5db3d7, v5
	v_mul_f32_e32 v13, 0xbf5db3d7, v23
	v_mul_f32_e32 v16, 0.5, v5
	v_fmac_f32_e32 v12, 0.5, v7
	v_fmac_f32_e32 v13, -0.5, v22
	v_fmac_f32_e32 v16, 0x3f5db3d7, v7
	v_add_f32_e32 v0, v10, v9
	v_add_f32_e32 v4, v19, v12
	;; [unrolled: 1-line block ×4, first 2 shown]
	v_mul_f32_e32 v23, -0.5, v23
	v_sub_f32_e32 v8, v10, v9
	v_sub_f32_e32 v10, v19, v12
	;; [unrolled: 1-line block ×4, first 2 shown]
	v_add_f32_e32 v16, v2, v17
	v_fmac_f32_e32 v23, 0x3f5db3d7, v22
	v_add_f32_e32 v22, v16, v30
	v_add_f32_e32 v16, v17, v30
	v_fma_f32 v2, -0.5, v16, v2
	v_add_f32_e32 v7, v32, v23
	v_sub_f32_e32 v13, v32, v23
	v_sub_f32_e32 v16, v27, v14
	v_mov_b32_e32 v23, v2
	v_fmac_f32_e32 v23, 0xbf5db3d7, v16
	v_fmac_f32_e32 v2, 0x3f5db3d7, v16
	v_add_f32_e32 v16, v3, v27
	v_add_f32_e32 v1, v31, v33
	v_sub_f32_e32 v9, v31, v33
	v_add_f32_e32 v31, v16, v14
	v_add_f32_e32 v14, v27, v14
	v_fmac_f32_e32 v3, -0.5, v14
	v_sub_f32_e32 v14, v17, v30
	v_mov_b32_e32 v27, v3
	v_fmac_f32_e32 v27, 0x3f5db3d7, v14
	v_fmac_f32_e32 v3, 0xbf5db3d7, v14
	v_add_f32_e32 v14, v25, v28
	v_add_f32_e32 v24, v14, v15
	;; [unrolled: 1-line block ×3, first 2 shown]
	v_fmac_f32_e32 v25, -0.5, v14
	v_sub_f32_e32 v14, v29, v18
	v_mov_b32_e32 v17, v25
	v_fmac_f32_e32 v17, 0xbf5db3d7, v14
	v_fmac_f32_e32 v25, 0x3f5db3d7, v14
	v_add_f32_e32 v14, v26, v29
	v_add_f32_e32 v30, v14, v18
	;; [unrolled: 1-line block ×3, first 2 shown]
	v_fmac_f32_e32 v26, -0.5, v14
	v_sub_f32_e32 v14, v28, v15
	v_mov_b32_e32 v19, v26
	v_fmac_f32_e32 v26, 0xbf5db3d7, v14
	v_fmac_f32_e32 v19, 0x3f5db3d7, v14
	v_mul_f32_e32 v29, 0xbf5db3d7, v26
	v_mul_f32_e32 v26, -0.5, v26
	v_mul_f32_e32 v28, 0xbf5db3d7, v19
	v_fmac_f32_e32 v29, -0.5, v25
	v_mul_f32_e32 v32, 0.5, v19
	v_fmac_f32_e32 v26, 0x3f5db3d7, v25
	v_mad_u64_u32 v[20:21], s[6:7], s2, v64, 0
	v_fmac_f32_e32 v28, 0.5, v17
	v_add_f32_e32 v18, v2, v29
	v_fmac_f32_e32 v32, 0x3f5db3d7, v17
	v_add_f32_e32 v19, v3, v26
	v_sub_f32_e32 v2, v2, v29
	v_sub_f32_e32 v3, v3, v26
	v_add_f32_e32 v14, v22, v24
	v_add_f32_e32 v16, v23, v28
	;; [unrolled: 1-line block ×4, first 2 shown]
	v_sub_f32_e32 v22, v22, v24
	v_sub_f32_e32 v24, v23, v28
	v_sub_f32_e32 v23, v31, v30
	v_sub_f32_e32 v25, v27, v32
	ds_write_b64 v89, v[4:5] offset:1728
	ds_write_b64 v89, v[6:7] offset:3456
	;; [unrolled: 1-line block ×5, first 2 shown]
	ds_write2_b64 v89, v[0:1], v[14:15] offset1:108
	ds_write_b64 v89, v[16:17] offset:2592
	ds_write_b64 v89, v[18:19] offset:4320
	ds_write_b64 v89, v[22:23] offset:6048
	ds_write_b64 v89, v[24:25] offset:7776
	ds_write_b64 v89, v[2:3] offset:9504
	s_waitcnt lgkmcnt(0)
	s_barrier
	ds_read2_b64 v[0:3], v89 offset1:108
	v_mov_b32_e32 v4, v21
	v_mad_u64_u32 v[4:5], s[2:3], s3, v64, v[4:5]
	s_mov_b32 s2, 0xfcd6e9e0
	s_waitcnt lgkmcnt(0)
	v_mul_f32_e32 v5, v72, v1
	v_fmac_f32_e32 v5, v71, v0
	v_cvt_f64_f32_e32 v[5:6], v5
	s_mov_b32 s3, 0x3f4948b0
	v_mul_f32_e32 v0, v72, v0
	v_mad_u64_u32 v[8:9], s[6:7], s0, v88, 0
	v_mul_f64 v[5:6], v[5:6], s[2:3]
	v_fma_f32 v0, v71, v1, -v0
	v_cvt_f64_f32_e32 v[0:1], v0
	v_mov_b32_e32 v21, v4
	v_mov_b32_e32 v4, v9
	;; [unrolled: 1-line block ×3, first 2 shown]
	v_mul_f64 v[0:1], v[0:1], s[2:3]
	s_mul_hi_u32 s5, s0, 0x6c0
	v_mad_u64_u32 v[9:10], s[6:7], s1, v88, v[4:5]
	v_cvt_f32_f64_e32 v10, v[5:6]
	ds_read2_b64 v[4:7], v94 offset0:88 offset1:196
	v_cvt_f32_f64_e32 v11, v[0:1]
	v_lshlrev_b64 v[0:1], 3, v[20:21]
	s_waitcnt lgkmcnt(0)
	v_mul_f32_e32 v12, v70, v5
	v_fmac_f32_e32 v12, v69, v4
	v_mul_f32_e32 v4, v70, v4
	v_fma_f32 v4, v69, v5, -v4
	v_cvt_f64_f32_e32 v[4:5], v4
	v_add_co_u32_e32 v15, vcc, s4, v0
	v_addc_co_u32_e32 v14, vcc, v14, v1, vcc
	v_lshlrev_b64 v[0:1], 3, v[8:9]
	v_mul_f64 v[4:5], v[4:5], s[2:3]
	v_add_co_u32_e32 v0, vcc, v15, v0
	v_addc_co_u32_e32 v1, vcc, v14, v1, vcc
	global_store_dwordx2 v[0:1], v[10:11], off
	ds_read2_b64 v[8:11], v93 offset0:48 offset1:156
	v_cvt_f64_f32_e32 v[12:13], v12
	v_cvt_f32_f64_e32 v17, v[4:5]
	s_mul_i32 s4, s1, 0x6c0
	s_add_i32 s4, s5, s4
	s_waitcnt lgkmcnt(0)
	v_mul_f32_e32 v4, v68, v9
	v_mul_f64 v[12:13], v[12:13], s[2:3]
	v_fmac_f32_e32 v4, v67, v8
	v_cvt_f64_f32_e32 v[4:5], v4
	v_mul_f32_e32 v8, v68, v8
	v_fma_f32 v8, v67, v9, -v8
	v_cvt_f64_f32_e32 v[8:9], v8
	v_mul_f64 v[4:5], v[4:5], s[2:3]
	s_mul_i32 s5, s0, 0x6c0
	v_cvt_f32_f64_e32 v16, v[12:13]
	ds_read2_b64 v[12:15], v92 offset0:136 offset1:244
	v_mov_b32_e32 v18, s4
	v_add_co_u32_e32 v0, vcc, s5, v0
	v_mul_f64 v[8:9], v[8:9], s[2:3]
	v_cvt_f32_f64_e32 v4, v[4:5]
	s_waitcnt lgkmcnt(0)
	v_mul_f32_e32 v5, v66, v13
	v_addc_co_u32_e32 v1, vcc, v1, v18, vcc
	v_fmac_f32_e32 v5, v65, v12
	global_store_dwordx2 v[0:1], v[16:17], off
	v_cvt_f64_f32_e32 v[16:17], v5
	v_mul_f32_e32 v5, v66, v12
	v_fma_f32 v5, v65, v13, -v5
	v_cvt_f64_f32_e32 v[12:13], v5
	v_cvt_f32_f64_e32 v5, v[8:9]
	v_mul_f64 v[8:9], v[16:17], s[2:3]
	v_add_co_u32_e32 v0, vcc, s5, v0
	v_mul_f64 v[12:13], v[12:13], s[2:3]
	v_addc_co_u32_e32 v1, vcc, v1, v18, vcc
	ds_read2_b64 v[16:19], v91 offset0:96 offset1:204
	global_store_dwordx2 v[0:1], v[4:5], off
	v_cvt_f32_f64_e32 v4, v[8:9]
	ds_read2_b64 v[20:23], v90 offset0:56 offset1:164
	v_mov_b32_e32 v24, s4
	v_cvt_f32_f64_e32 v5, v[12:13]
	s_waitcnt lgkmcnt(1)
	v_mul_f32_e32 v8, v59, v17
	v_mul_f32_e32 v12, v59, v16
	v_fmac_f32_e32 v8, v58, v16
	v_fma_f32 v12, v58, v17, -v12
	v_cvt_f64_f32_e32 v[8:9], v8
	v_cvt_f64_f32_e32 v[12:13], v12
	v_add_co_u32_e32 v0, vcc, s5, v0
	v_addc_co_u32_e32 v1, vcc, v1, v24, vcc
	global_store_dwordx2 v[0:1], v[4:5], off
	v_mul_f64 v[4:5], v[8:9], s[2:3]
	v_mul_f64 v[8:9], v[12:13], s[2:3]
	s_waitcnt lgkmcnt(0)
	v_mul_f32_e32 v12, v63, v21
	v_fmac_f32_e32 v12, v62, v20
	v_cvt_f64_f32_e32 v[12:13], v12
	v_mul_f32_e32 v16, v63, v20
	v_fma_f32 v16, v62, v21, -v16
	v_cvt_f64_f32_e32 v[16:17], v16
	v_cvt_f32_f64_e32 v4, v[4:5]
	v_cvt_f32_f64_e32 v5, v[8:9]
	v_mul_f64 v[8:9], v[12:13], s[2:3]
	v_mul_f64 v[12:13], v[16:17], s[2:3]
	v_mov_b32_e32 v16, s4
	v_add_co_u32_e32 v0, vcc, s5, v0
	v_addc_co_u32_e32 v1, vcc, v1, v16, vcc
	global_store_dwordx2 v[0:1], v[4:5], off
	v_cvt_f32_f64_e32 v4, v[8:9]
	v_mul_f32_e32 v8, v61, v3
	v_fmac_f32_e32 v8, v60, v2
	v_cvt_f64_f32_e32 v[8:9], v8
	v_mul_f32_e32 v2, v61, v2
	v_fma_f32 v2, v60, v3, -v2
	v_cvt_f32_f64_e32 v5, v[12:13]
	v_mov_b32_e32 v12, s4
	v_cvt_f64_f32_e32 v[2:3], v2
	v_add_co_u32_e32 v0, vcc, s5, v0
	v_addc_co_u32_e32 v1, vcc, v1, v12, vcc
	v_mul_f32_e32 v12, v55, v7
	v_mul_f64 v[8:9], v[8:9], s[2:3]
	v_fmac_f32_e32 v12, v54, v6
	v_mul_f32_e32 v6, v55, v6
	v_fma_f32 v6, v54, v7, -v6
	v_mul_f64 v[2:3], v[2:3], s[2:3]
	v_cvt_f64_f32_e32 v[6:7], v6
	v_cvt_f64_f32_e32 v[12:13], v12
	global_store_dwordx2 v[0:1], v[4:5], off
	v_cvt_f32_f64_e32 v4, v[8:9]
	v_mul_f64 v[6:7], v[6:7], s[2:3]
	v_mul_f64 v[8:9], v[12:13], s[2:3]
	v_mad_u64_u32 v[0:1], s[6:7], s0, v87, v[0:1]
	v_cvt_f32_f64_e32 v5, v[2:3]
	s_mulk_i32 s1, 0xe1a0
	s_sub_i32 s0, s1, s0
	v_add_u32_e32 v1, s0, v1
	global_store_dwordx2 v[0:1], v[4:5], off
	v_cvt_f32_f64_e32 v3, v[6:7]
	v_mul_f32_e32 v4, v57, v11
	v_mul_f32_e32 v6, v57, v10
	v_fmac_f32_e32 v4, v56, v10
	v_fma_f32 v6, v56, v11, -v6
	v_cvt_f32_f64_e32 v2, v[8:9]
	v_cvt_f64_f32_e32 v[4:5], v4
	v_cvt_f64_f32_e32 v[6:7], v6
	v_mov_b32_e32 v8, s4
	v_add_co_u32_e32 v0, vcc, s5, v0
	v_addc_co_u32_e32 v1, vcc, v1, v8, vcc
	global_store_dwordx2 v[0:1], v[2:3], off
	v_mul_f64 v[2:3], v[4:5], s[2:3]
	v_mul_f64 v[4:5], v[6:7], s[2:3]
	v_mul_f32_e32 v6, v53, v15
	v_mul_f32_e32 v8, v53, v14
	v_fmac_f32_e32 v6, v52, v14
	v_fma_f32 v8, v52, v15, -v8
	v_cvt_f64_f32_e32 v[6:7], v6
	v_cvt_f64_f32_e32 v[8:9], v8
	v_cvt_f32_f64_e32 v2, v[2:3]
	v_cvt_f32_f64_e32 v3, v[4:5]
	v_mul_f64 v[4:5], v[6:7], s[2:3]
	v_mul_f64 v[6:7], v[8:9], s[2:3]
	v_mov_b32_e32 v8, s4
	v_add_co_u32_e32 v0, vcc, s5, v0
	v_addc_co_u32_e32 v1, vcc, v1, v8, vcc
	global_store_dwordx2 v[0:1], v[2:3], off
	v_cvt_f32_f64_e32 v2, v[4:5]
	v_cvt_f32_f64_e32 v3, v[6:7]
	v_mul_f32_e32 v4, v51, v19
	v_mul_f32_e32 v6, v51, v18
	v_fmac_f32_e32 v4, v50, v18
	v_fma_f32 v6, v50, v19, -v6
	v_cvt_f64_f32_e32 v[4:5], v4
	v_cvt_f64_f32_e32 v[6:7], v6
	v_add_co_u32_e32 v0, vcc, s5, v0
	v_addc_co_u32_e32 v1, vcc, v1, v8, vcc
	global_store_dwordx2 v[0:1], v[2:3], off
	v_mul_f64 v[2:3], v[4:5], s[2:3]
	v_mul_f64 v[4:5], v[6:7], s[2:3]
	v_mul_f32_e32 v6, v49, v23
	v_mul_f32_e32 v8, v49, v22
	v_fmac_f32_e32 v6, v48, v22
	v_fma_f32 v8, v48, v23, -v8
	v_cvt_f64_f32_e32 v[6:7], v6
	v_cvt_f64_f32_e32 v[8:9], v8
	v_cvt_f32_f64_e32 v2, v[2:3]
	v_cvt_f32_f64_e32 v3, v[4:5]
	v_mul_f64 v[4:5], v[6:7], s[2:3]
	v_mul_f64 v[6:7], v[8:9], s[2:3]
	v_mov_b32_e32 v8, s4
	v_add_co_u32_e32 v0, vcc, s5, v0
	v_addc_co_u32_e32 v1, vcc, v1, v8, vcc
	global_store_dwordx2 v[0:1], v[2:3], off
	v_cvt_f32_f64_e32 v2, v[4:5]
	v_cvt_f32_f64_e32 v3, v[6:7]
	v_mov_b32_e32 v4, s4
	v_add_co_u32_e32 v0, vcc, s5, v0
	v_addc_co_u32_e32 v1, vcc, v1, v4, vcc
	global_store_dwordx2 v[0:1], v[2:3], off
.LBB0_2:
	s_endpgm
	.section	.rodata,"a",@progbits
	.p2align	6, 0x0
	.amdhsa_kernel bluestein_single_fwd_len1296_dim1_sp_op_CI_CI
		.amdhsa_group_segment_fixed_size 10368
		.amdhsa_private_segment_fixed_size 0
		.amdhsa_kernarg_size 104
		.amdhsa_user_sgpr_count 6
		.amdhsa_user_sgpr_private_segment_buffer 1
		.amdhsa_user_sgpr_dispatch_ptr 0
		.amdhsa_user_sgpr_queue_ptr 0
		.amdhsa_user_sgpr_kernarg_segment_ptr 1
		.amdhsa_user_sgpr_dispatch_id 0
		.amdhsa_user_sgpr_flat_scratch_init 0
		.amdhsa_user_sgpr_private_segment_size 0
		.amdhsa_uses_dynamic_stack 0
		.amdhsa_system_sgpr_private_segment_wavefront_offset 0
		.amdhsa_system_sgpr_workgroup_id_x 1
		.amdhsa_system_sgpr_workgroup_id_y 0
		.amdhsa_system_sgpr_workgroup_id_z 0
		.amdhsa_system_sgpr_workgroup_info 0
		.amdhsa_system_vgpr_workitem_id 0
		.amdhsa_next_free_vgpr 137
		.amdhsa_next_free_sgpr 20
		.amdhsa_reserve_vcc 1
		.amdhsa_reserve_flat_scratch 0
		.amdhsa_float_round_mode_32 0
		.amdhsa_float_round_mode_16_64 0
		.amdhsa_float_denorm_mode_32 3
		.amdhsa_float_denorm_mode_16_64 3
		.amdhsa_dx10_clamp 1
		.amdhsa_ieee_mode 1
		.amdhsa_fp16_overflow 0
		.amdhsa_exception_fp_ieee_invalid_op 0
		.amdhsa_exception_fp_denorm_src 0
		.amdhsa_exception_fp_ieee_div_zero 0
		.amdhsa_exception_fp_ieee_overflow 0
		.amdhsa_exception_fp_ieee_underflow 0
		.amdhsa_exception_fp_ieee_inexact 0
		.amdhsa_exception_int_div_zero 0
	.end_amdhsa_kernel
	.text
.Lfunc_end0:
	.size	bluestein_single_fwd_len1296_dim1_sp_op_CI_CI, .Lfunc_end0-bluestein_single_fwd_len1296_dim1_sp_op_CI_CI
                                        ; -- End function
	.section	.AMDGPU.csdata,"",@progbits
; Kernel info:
; codeLenInByte = 9568
; NumSgprs: 24
; NumVgprs: 137
; ScratchSize: 0
; MemoryBound: 0
; FloatMode: 240
; IeeeMode: 1
; LDSByteSize: 10368 bytes/workgroup (compile time only)
; SGPRBlocks: 2
; VGPRBlocks: 34
; NumSGPRsForWavesPerEU: 24
; NumVGPRsForWavesPerEU: 137
; Occupancy: 1
; WaveLimiterHint : 1
; COMPUTE_PGM_RSRC2:SCRATCH_EN: 0
; COMPUTE_PGM_RSRC2:USER_SGPR: 6
; COMPUTE_PGM_RSRC2:TRAP_HANDLER: 0
; COMPUTE_PGM_RSRC2:TGID_X_EN: 1
; COMPUTE_PGM_RSRC2:TGID_Y_EN: 0
; COMPUTE_PGM_RSRC2:TGID_Z_EN: 0
; COMPUTE_PGM_RSRC2:TIDIG_COMP_CNT: 0
	.type	__hip_cuid_a155f36479e66885,@object ; @__hip_cuid_a155f36479e66885
	.section	.bss,"aw",@nobits
	.globl	__hip_cuid_a155f36479e66885
__hip_cuid_a155f36479e66885:
	.byte	0                               ; 0x0
	.size	__hip_cuid_a155f36479e66885, 1

	.ident	"AMD clang version 19.0.0git (https://github.com/RadeonOpenCompute/llvm-project roc-6.4.0 25133 c7fe45cf4b819c5991fe208aaa96edf142730f1d)"
	.section	".note.GNU-stack","",@progbits
	.addrsig
	.addrsig_sym __hip_cuid_a155f36479e66885
	.amdgpu_metadata
---
amdhsa.kernels:
  - .args:
      - .actual_access:  read_only
        .address_space:  global
        .offset:         0
        .size:           8
        .value_kind:     global_buffer
      - .actual_access:  read_only
        .address_space:  global
        .offset:         8
        .size:           8
        .value_kind:     global_buffer
      - .actual_access:  read_only
        .address_space:  global
        .offset:         16
        .size:           8
        .value_kind:     global_buffer
      - .actual_access:  read_only
        .address_space:  global
        .offset:         24
        .size:           8
        .value_kind:     global_buffer
      - .actual_access:  read_only
        .address_space:  global
        .offset:         32
        .size:           8
        .value_kind:     global_buffer
      - .offset:         40
        .size:           8
        .value_kind:     by_value
      - .address_space:  global
        .offset:         48
        .size:           8
        .value_kind:     global_buffer
      - .address_space:  global
        .offset:         56
        .size:           8
        .value_kind:     global_buffer
      - .address_space:  global
        .offset:         64
        .size:           8
        .value_kind:     global_buffer
      - .address_space:  global
        .offset:         72
        .size:           8
        .value_kind:     global_buffer
      - .offset:         80
        .size:           4
        .value_kind:     by_value
      - .address_space:  global
        .offset:         88
        .size:           8
        .value_kind:     global_buffer
      - .address_space:  global
        .offset:         96
        .size:           8
        .value_kind:     global_buffer
    .group_segment_fixed_size: 10368
    .kernarg_segment_align: 8
    .kernarg_segment_size: 104
    .language:       OpenCL C
    .language_version:
      - 2
      - 0
    .max_flat_workgroup_size: 108
    .name:           bluestein_single_fwd_len1296_dim1_sp_op_CI_CI
    .private_segment_fixed_size: 0
    .sgpr_count:     24
    .sgpr_spill_count: 0
    .symbol:         bluestein_single_fwd_len1296_dim1_sp_op_CI_CI.kd
    .uniform_work_group_size: 1
    .uses_dynamic_stack: false
    .vgpr_count:     137
    .vgpr_spill_count: 0
    .wavefront_size: 64
amdhsa.target:   amdgcn-amd-amdhsa--gfx906
amdhsa.version:
  - 1
  - 2
...

	.end_amdgpu_metadata
